;; amdgpu-corpus repo=pytorch/pytorch kind=compiled arch=gfx906 opt=O3
	.amdgcn_target "amdgcn-amd-amdhsa--gfx906"
	.amdhsa_code_object_version 6
	.section	.text._ZN2at6native13col2im_kernelIddEEvlPKT_llllllllllllPS2_,"axG",@progbits,_ZN2at6native13col2im_kernelIddEEvlPKT_llllllllllllPS2_,comdat
	.protected	_ZN2at6native13col2im_kernelIddEEvlPKT_llllllllllllPS2_ ; -- Begin function _ZN2at6native13col2im_kernelIddEEvlPKT_llllllllllllPS2_
	.globl	_ZN2at6native13col2im_kernelIddEEvlPKT_llllllllllllPS2_
	.p2align	8
	.type	_ZN2at6native13col2im_kernelIddEEvlPKT_llllllllllllPS2_,@function
_ZN2at6native13col2im_kernelIddEEvlPKT_llllllllllllPS2_: ; @_ZN2at6native13col2im_kernelIddEEvlPKT_llllllllllllPS2_
; %bb.0:
	s_load_dword s2, s[4:5], 0x84
	s_load_dwordx16 s[8:23], s[4:5], 0x0
	s_add_u32 s0, s4, 0x78
	v_mov_b32_e32 v2, 0
	s_addc_u32 s1, s5, 0
	s_waitcnt lgkmcnt(0)
	s_and_b32 s2, s2, 0xffff
	v_mov_b32_e32 v1, v2
	v_mov_b32_e32 v3, s6
	v_mad_u64_u32 v[0:1], s[6:7], s2, v3, v[0:1]
	v_cmp_gt_i64_e32 vcc, s[8:9], v[0:1]
	s_and_saveexec_b64 s[6:7], vcc
	s_cbranch_execz .LBB0_55
; %bb.1:
	s_load_dwordx8 s[24:31], s[4:5], 0x40
	s_load_dwordx8 s[36:43], s[4:5], 0x60
	s_load_dword s3, s[0:1], 0x0
	s_mul_i32 s0, s14, s13
	s_mul_hi_u32 s1, s14, s12
	s_add_i32 s0, s1, s0
	s_mul_i32 s1, s15, s12
	s_add_i32 s33, s0, s1
	s_add_u32 s0, s18, -1
	s_addc_u32 s1, s19, -1
	s_waitcnt lgkmcnt(0)
	s_mul_i32 s1, s30, s1
	s_mul_hi_u32 s4, s30, s0
	s_add_i32 s1, s4, s1
	s_mul_i32 s4, s31, s0
	s_add_i32 s7, s1, s4
	s_mul_i32 s6, s30, s0
	s_add_u32 s0, s16, -1
	s_addc_u32 s1, s17, -1
	s_mul_i32 s1, s28, s1
	s_mul_hi_u32 s4, s28, s0
	s_add_i32 s1, s4, s1
	s_mul_i32 s4, s29, s0
	s_add_i32 s35, s1, s4
	s_mul_i32 s34, s28, s0
	s_mul_i32 s66, s14, s12
	s_not_b64 s[42:43], s[34:35]
	s_not_b64 s[44:45], s[6:7]
	s_mul_i32 s67, s3, s2
	s_lshl_b64 s[46:47], s[38:39], 3
	s_mov_b64 s[48:49], 0
	s_branch .LBB0_4
.LBB0_2:                                ;   in Loop: Header=BB0_4 Depth=1
	s_or_b64 exec, exec, s[52:53]
.LBB0_3:                                ;   in Loop: Header=BB0_4 Depth=1
	s_or_b64 exec, exec, s[50:51]
	v_add_co_u32_e32 v0, vcc, s67, v0
	v_lshlrev_b64 v[3:4], 3, v[4:5]
	v_addc_co_u32_e32 v1, vcc, 0, v1, vcc
	v_cmp_le_i64_e32 vcc, s[8:9], v[0:1]
	v_mov_b32_e32 v5, s41
	v_add_co_u32_e64 v3, s[0:1], s40, v3
	v_addc_co_u32_e64 v4, s[0:1], v5, v4, s[0:1]
	s_or_b64 s[48:49], vcc, s[48:49]
	global_store_dwordx2 v[3:4], v[20:21], off
	s_andn2_b64 exec, exec, s[48:49]
	s_cbranch_execz .LBB0_55
.LBB0_4:                                ; =>This Loop Header: Depth=1
                                        ;     Child Loop BB0_40 Depth 2
                                        ;       Child Loop BB0_48 Depth 3
	v_ashrrev_i32_e32 v5, 31, v0
	v_or_b32_e32 v3, s15, v5
	v_cmp_ne_u64_e32 vcc, 0, v[2:3]
	v_mov_b32_e32 v4, v0
	v_ashrrev_i32_e32 v12, 31, v5
                                        ; implicit-def: $vgpr6_vgpr7
	s_and_saveexec_b64 s[0:1], vcc
	s_xor_b64 s[2:3], exec, s[0:1]
	s_cbranch_execz .LBB0_6
; %bb.5:                                ;   in Loop: Header=BB0_4 Depth=1
	s_ashr_i32 s4, s15, 31
	s_add_u32 s0, s14, s4
	s_mov_b32 s5, s4
	s_addc_u32 s1, s15, s4
	s_xor_b64 s[50:51], s[0:1], s[4:5]
	v_cvt_f32_u32_e32 v3, s50
	v_cvt_f32_u32_e32 v6, s51
	s_sub_u32 s5, 0, s50
	s_subb_u32 s52, 0, s51
	v_mac_f32_e32 v3, 0x4f800000, v6
	v_rcp_f32_e32 v3, v3
	v_mul_f32_e32 v3, 0x5f7ffffc, v3
	v_mul_f32_e32 v6, 0x2f800000, v3
	v_trunc_f32_e32 v6, v6
	v_mac_f32_e32 v3, 0xcf800000, v6
	v_cvt_u32_f32_e32 v6, v6
	v_cvt_u32_f32_e32 v3, v3
	v_readfirstlane_b32 s53, v6
	v_readfirstlane_b32 s0, v3
	s_mul_i32 s1, s5, s53
	s_mul_hi_u32 s55, s5, s0
	s_mul_i32 s54, s52, s0
	s_add_i32 s1, s55, s1
	s_add_i32 s1, s1, s54
	s_mul_i32 s56, s5, s0
	s_mul_i32 s55, s0, s1
	s_mul_hi_u32 s57, s0, s56
	s_mul_hi_u32 s54, s0, s1
	s_add_u32 s55, s57, s55
	s_addc_u32 s54, 0, s54
	s_mul_hi_u32 s58, s53, s56
	s_mul_i32 s56, s53, s56
	s_add_u32 s55, s55, s56
	s_mul_hi_u32 s57, s53, s1
	s_addc_u32 s54, s54, s58
	s_addc_u32 s55, s57, 0
	s_mul_i32 s1, s53, s1
	s_add_u32 s1, s54, s1
	s_addc_u32 s54, 0, s55
	s_add_u32 s55, s0, s1
	s_cselect_b64 s[0:1], -1, 0
	s_cmp_lg_u64 s[0:1], 0
	s_addc_u32 s53, s53, s54
	s_mul_i32 s0, s5, s53
	s_mul_hi_u32 s1, s5, s55
	s_add_i32 s0, s1, s0
	s_mul_i32 s52, s52, s55
	s_add_i32 s0, s0, s52
	s_mul_i32 s5, s5, s55
	s_mul_hi_u32 s52, s53, s5
	s_mul_i32 s54, s53, s5
	s_mul_i32 s57, s55, s0
	s_mul_hi_u32 s5, s55, s5
	s_mul_hi_u32 s56, s55, s0
	s_add_u32 s5, s5, s57
	s_addc_u32 s56, 0, s56
	s_add_u32 s5, s5, s54
	s_mul_hi_u32 s1, s53, s0
	s_addc_u32 s5, s56, s52
	s_addc_u32 s1, s1, 0
	s_mul_i32 s0, s53, s0
	s_add_u32 s0, s5, s0
	s_addc_u32 s5, 0, s1
	s_add_u32 s52, s55, s0
	s_cselect_b64 s[0:1], -1, 0
	s_cmp_lg_u64 s[0:1], 0
	v_add_co_u32_e32 v3, vcc, v4, v12
	s_addc_u32 s5, s53, s5
	v_xor_b32_e32 v3, v3, v12
	v_mad_u64_u32 v[6:7], s[0:1], v3, s5, 0
	v_mul_hi_u32 v9, v3, s52
	v_addc_co_u32_e32 v8, vcc, v5, v12, vcc
	v_xor_b32_e32 v10, v8, v12
	v_add_co_u32_e32 v11, vcc, v9, v6
	v_addc_co_u32_e32 v13, vcc, 0, v7, vcc
	v_mad_u64_u32 v[6:7], s[0:1], v10, s52, 0
	v_mad_u64_u32 v[8:9], s[0:1], v10, s5, 0
	v_add_co_u32_e32 v6, vcc, v11, v6
	v_addc_co_u32_e32 v6, vcc, v13, v7, vcc
	v_addc_co_u32_e32 v7, vcc, 0, v9, vcc
	v_add_co_u32_e32 v8, vcc, v6, v8
	v_addc_co_u32_e32 v9, vcc, 0, v7, vcc
	v_mul_lo_u32 v11, s51, v8
	v_mul_lo_u32 v13, s50, v9
	v_mad_u64_u32 v[6:7], s[0:1], s50, v8, 0
	v_add3_u32 v7, v7, v13, v11
	v_sub_u32_e32 v11, v10, v7
	v_mov_b32_e32 v13, s51
	v_sub_co_u32_e32 v3, vcc, v3, v6
	v_subb_co_u32_e64 v6, s[0:1], v11, v13, vcc
	v_subrev_co_u32_e64 v11, s[0:1], s50, v3
	v_subbrev_co_u32_e64 v6, s[0:1], 0, v6, s[0:1]
	v_cmp_le_u32_e64 s[0:1], s51, v6
	v_cndmask_b32_e64 v13, 0, -1, s[0:1]
	v_cmp_le_u32_e64 s[0:1], s50, v11
	v_cndmask_b32_e64 v11, 0, -1, s[0:1]
	v_cmp_eq_u32_e64 s[0:1], s51, v6
	v_cndmask_b32_e64 v6, v13, v11, s[0:1]
	v_add_co_u32_e64 v11, s[0:1], 2, v8
	v_subb_co_u32_e32 v7, vcc, v10, v7, vcc
	v_addc_co_u32_e64 v13, s[0:1], 0, v9, s[0:1]
	v_cmp_le_u32_e32 vcc, s51, v7
	v_add_co_u32_e64 v14, s[0:1], 1, v8
	v_cndmask_b32_e64 v10, 0, -1, vcc
	v_cmp_le_u32_e32 vcc, s50, v3
	v_addc_co_u32_e64 v15, s[0:1], 0, v9, s[0:1]
	v_cndmask_b32_e64 v3, 0, -1, vcc
	v_cmp_eq_u32_e32 vcc, s51, v7
	v_cmp_ne_u32_e64 s[0:1], 0, v6
	v_cndmask_b32_e32 v3, v10, v3, vcc
	v_cndmask_b32_e64 v6, v15, v13, s[0:1]
	v_cmp_ne_u32_e32 vcc, 0, v3
	v_cndmask_b32_e32 v3, v9, v6, vcc
	v_cndmask_b32_e64 v6, v14, v11, s[0:1]
	v_cndmask_b32_e32 v6, v8, v6, vcc
	v_xor_b32_e32 v7, s4, v12
	v_xor_b32_e32 v6, v6, v7
	;; [unrolled: 1-line block ×3, first 2 shown]
	v_sub_co_u32_e32 v6, vcc, v6, v7
	v_subb_co_u32_e32 v7, vcc, v3, v7, vcc
.LBB0_6:                                ;   in Loop: Header=BB0_4 Depth=1
	s_andn2_saveexec_b64 s[0:1], s[2:3]
	s_cbranch_execz .LBB0_8
; %bb.7:                                ;   in Loop: Header=BB0_4 Depth=1
	v_cvt_f32_u32_e32 v3, s14
	s_sub_i32 s2, 0, s14
	v_rcp_iflag_f32_e32 v3, v3
	v_mul_f32_e32 v3, 0x4f7ffffe, v3
	v_cvt_u32_f32_e32 v3, v3
	v_mul_lo_u32 v6, s2, v3
	v_mul_hi_u32 v6, v3, v6
	v_add_u32_e32 v3, v3, v6
	v_mul_hi_u32 v3, v4, v3
	v_mul_lo_u32 v6, v3, s14
	v_add_u32_e32 v7, 1, v3
	v_sub_u32_e32 v6, v4, v6
	v_subrev_u32_e32 v8, s14, v6
	v_cmp_le_u32_e32 vcc, s14, v6
	v_cndmask_b32_e32 v6, v6, v8, vcc
	v_cndmask_b32_e32 v3, v3, v7, vcc
	v_add_u32_e32 v7, 1, v3
	v_cmp_le_u32_e32 vcc, s14, v6
	v_cndmask_b32_e32 v6, v3, v7, vcc
	v_mov_b32_e32 v7, v2
.LBB0_8:                                ;   in Loop: Header=BB0_4 Depth=1
	s_or_b64 exec, exec, s[0:1]
	v_or_b32_e32 v3, s13, v7
	v_cmp_ne_u64_e32 vcc, 0, v[2:3]
                                        ; implicit-def: $vgpr8_vgpr9
	s_and_saveexec_b64 s[0:1], vcc
	s_xor_b64 s[4:5], exec, s[0:1]
	s_cbranch_execz .LBB0_10
; %bb.9:                                ;   in Loop: Header=BB0_4 Depth=1
	s_ashr_i32 s0, s13, 31
	s_add_u32 s2, s12, s0
	s_mov_b32 s1, s0
	s_addc_u32 s3, s13, s0
	s_xor_b64 s[50:51], s[2:3], s[0:1]
	v_cvt_f32_u32_e32 v3, s50
	v_cvt_f32_u32_e32 v8, s51
	s_sub_u32 s2, 0, s50
	s_subb_u32 s3, 0, s51
	v_mac_f32_e32 v3, 0x4f800000, v8
	v_rcp_f32_e32 v3, v3
	v_mul_f32_e32 v3, 0x5f7ffffc, v3
	v_mul_f32_e32 v8, 0x2f800000, v3
	v_trunc_f32_e32 v8, v8
	v_mac_f32_e32 v3, 0xcf800000, v8
	v_cvt_u32_f32_e32 v8, v8
	v_cvt_u32_f32_e32 v3, v3
	v_readfirstlane_b32 s52, v8
	v_readfirstlane_b32 s0, v3
	s_mul_i32 s1, s2, s52
	s_mul_hi_u32 s54, s2, s0
	s_mul_i32 s53, s3, s0
	s_add_i32 s1, s54, s1
	s_add_i32 s1, s1, s53
	s_mul_i32 s55, s2, s0
	s_mul_i32 s54, s0, s1
	s_mul_hi_u32 s56, s0, s55
	s_mul_hi_u32 s53, s0, s1
	s_add_u32 s54, s56, s54
	s_addc_u32 s53, 0, s53
	s_mul_hi_u32 s57, s52, s55
	s_mul_i32 s55, s52, s55
	s_add_u32 s54, s54, s55
	s_mul_hi_u32 s56, s52, s1
	s_addc_u32 s53, s53, s57
	s_addc_u32 s54, s56, 0
	s_mul_i32 s1, s52, s1
	s_add_u32 s1, s53, s1
	s_addc_u32 s53, 0, s54
	s_add_u32 s54, s0, s1
	s_cselect_b64 s[0:1], -1, 0
	s_cmp_lg_u64 s[0:1], 0
	s_addc_u32 s52, s52, s53
	s_mul_i32 s0, s2, s52
	s_mul_hi_u32 s1, s2, s54
	s_add_i32 s0, s1, s0
	s_mul_i32 s3, s3, s54
	s_add_i32 s0, s0, s3
	s_mul_i32 s2, s2, s54
	s_mul_hi_u32 s3, s52, s2
	s_mul_i32 s53, s52, s2
	s_mul_i32 s56, s54, s0
	s_mul_hi_u32 s2, s54, s2
	s_mul_hi_u32 s55, s54, s0
	s_add_u32 s2, s2, s56
	s_addc_u32 s55, 0, s55
	s_add_u32 s2, s2, s53
	s_mul_hi_u32 s1, s52, s0
	s_addc_u32 s2, s55, s3
	s_addc_u32 s1, s1, 0
	s_mul_i32 s0, s52, s0
	s_add_u32 s0, s2, s0
	s_addc_u32 s2, 0, s1
	s_add_u32 s3, s54, s0
	s_cselect_b64 s[0:1], -1, 0
	v_ashrrev_i32_e32 v3, 31, v7
	s_cmp_lg_u64 s[0:1], 0
	v_add_co_u32_e32 v8, vcc, v6, v3
	s_addc_u32 s2, s52, s2
	v_xor_b32_e32 v13, v8, v3
	v_mad_u64_u32 v[8:9], s[0:1], v13, s2, 0
	v_mul_hi_u32 v11, v13, s3
	v_addc_co_u32_e32 v10, vcc, v7, v3, vcc
	v_xor_b32_e32 v14, v10, v3
	v_add_co_u32_e32 v15, vcc, v11, v8
	v_addc_co_u32_e32 v16, vcc, 0, v9, vcc
	v_mad_u64_u32 v[8:9], s[0:1], v14, s3, 0
	v_mad_u64_u32 v[10:11], s[0:1], v14, s2, 0
	v_add_co_u32_e32 v8, vcc, v15, v8
	v_addc_co_u32_e32 v8, vcc, v16, v9, vcc
	v_addc_co_u32_e32 v9, vcc, 0, v11, vcc
	v_add_co_u32_e32 v8, vcc, v8, v10
	v_addc_co_u32_e32 v9, vcc, 0, v9, vcc
	v_mul_lo_u32 v10, s51, v8
	v_mul_lo_u32 v11, s50, v9
	v_mad_u64_u32 v[8:9], s[0:1], s50, v8, 0
	v_add3_u32 v9, v9, v11, v10
	v_sub_u32_e32 v10, v14, v9
	v_mov_b32_e32 v11, s51
	v_sub_co_u32_e32 v8, vcc, v13, v8
	v_subb_co_u32_e64 v10, s[0:1], v10, v11, vcc
	v_subrev_co_u32_e64 v13, s[0:1], s50, v8
	v_subbrev_co_u32_e64 v15, s[2:3], 0, v10, s[0:1]
	v_cmp_le_u32_e64 s[2:3], s51, v15
	v_cndmask_b32_e64 v16, 0, -1, s[2:3]
	v_cmp_le_u32_e64 s[2:3], s50, v13
	v_subb_co_u32_e64 v10, s[0:1], v10, v11, s[0:1]
	v_cndmask_b32_e64 v17, 0, -1, s[2:3]
	v_cmp_eq_u32_e64 s[2:3], s51, v15
	v_subrev_co_u32_e64 v11, s[0:1], s50, v13
	v_subb_co_u32_e32 v9, vcc, v14, v9, vcc
	v_cndmask_b32_e64 v16, v16, v17, s[2:3]
	v_subbrev_co_u32_e64 v10, s[0:1], 0, v10, s[0:1]
	v_cmp_le_u32_e32 vcc, s51, v9
	v_cmp_ne_u32_e64 s[0:1], 0, v16
	v_cndmask_b32_e64 v14, 0, -1, vcc
	v_cmp_le_u32_e32 vcc, s50, v8
	v_cndmask_b32_e64 v10, v15, v10, s[0:1]
	v_cndmask_b32_e64 v15, 0, -1, vcc
	v_cmp_eq_u32_e32 vcc, s51, v9
	v_cndmask_b32_e32 v14, v14, v15, vcc
	v_cmp_ne_u32_e32 vcc, 0, v14
	v_cndmask_b32_e32 v9, v9, v10, vcc
	v_cndmask_b32_e64 v10, v13, v11, s[0:1]
	v_cndmask_b32_e32 v8, v8, v10, vcc
	v_xor_b32_e32 v8, v8, v3
	v_xor_b32_e32 v9, v9, v3
	v_sub_co_u32_e32 v8, vcc, v8, v3
	v_subb_co_u32_e32 v9, vcc, v9, v3, vcc
.LBB0_10:                               ;   in Loop: Header=BB0_4 Depth=1
	s_andn2_saveexec_b64 s[0:1], s[4:5]
	s_cbranch_execz .LBB0_12
; %bb.11:                               ;   in Loop: Header=BB0_4 Depth=1
	v_cvt_f32_u32_e32 v3, s12
	s_sub_i32 s2, 0, s12
	v_mov_b32_e32 v9, v2
	v_rcp_iflag_f32_e32 v3, v3
	v_mul_f32_e32 v3, 0x4f7ffffe, v3
	v_cvt_u32_f32_e32 v3, v3
	v_mul_lo_u32 v8, s2, v3
	v_mul_hi_u32 v8, v3, v8
	v_add_u32_e32 v3, v3, v8
	v_mul_hi_u32 v3, v6, v3
	v_mul_lo_u32 v3, v3, s12
	v_sub_u32_e32 v3, v6, v3
	v_subrev_u32_e32 v8, s12, v3
	v_cmp_le_u32_e32 vcc, s12, v3
	v_cndmask_b32_e32 v3, v3, v8, vcc
	v_subrev_u32_e32 v8, s12, v3
	v_cmp_le_u32_e32 vcc, s12, v3
	v_cndmask_b32_e32 v8, v3, v8, vcc
.LBB0_12:                               ;   in Loop: Header=BB0_4 Depth=1
	s_or_b64 exec, exec, s[0:1]
	v_or_b32_e32 v3, s33, v5
	v_cmp_ne_u64_e32 vcc, 0, v[2:3]
                                        ; implicit-def: $vgpr10_vgpr11
	s_and_saveexec_b64 s[0:1], vcc
	s_xor_b64 s[2:3], exec, s[0:1]
	s_cbranch_execz .LBB0_14
; %bb.13:                               ;   in Loop: Header=BB0_4 Depth=1
	s_ashr_i32 s4, s33, 31
	s_add_u32 s0, s66, s4
	s_mov_b32 s5, s4
	s_addc_u32 s1, s33, s4
	s_xor_b64 s[50:51], s[0:1], s[4:5]
	v_cvt_f32_u32_e32 v3, s50
	v_cvt_f32_u32_e32 v10, s51
	s_sub_u32 s5, 0, s50
	s_subb_u32 s52, 0, s51
	v_mac_f32_e32 v3, 0x4f800000, v10
	v_rcp_f32_e32 v3, v3
	v_mul_f32_e32 v3, 0x5f7ffffc, v3
	v_mul_f32_e32 v10, 0x2f800000, v3
	v_trunc_f32_e32 v10, v10
	v_mac_f32_e32 v3, 0xcf800000, v10
	v_cvt_u32_f32_e32 v10, v10
	v_cvt_u32_f32_e32 v3, v3
	v_readfirstlane_b32 s53, v10
	v_readfirstlane_b32 s0, v3
	s_mul_i32 s1, s5, s53
	s_mul_hi_u32 s55, s5, s0
	s_mul_i32 s54, s52, s0
	s_add_i32 s1, s55, s1
	s_add_i32 s1, s1, s54
	s_mul_i32 s56, s5, s0
	s_mul_i32 s55, s0, s1
	s_mul_hi_u32 s57, s0, s56
	s_mul_hi_u32 s54, s0, s1
	s_add_u32 s55, s57, s55
	s_addc_u32 s54, 0, s54
	s_mul_hi_u32 s58, s53, s56
	s_mul_i32 s56, s53, s56
	s_add_u32 s55, s55, s56
	s_mul_hi_u32 s57, s53, s1
	s_addc_u32 s54, s54, s58
	s_addc_u32 s55, s57, 0
	s_mul_i32 s1, s53, s1
	s_add_u32 s1, s54, s1
	s_addc_u32 s54, 0, s55
	s_add_u32 s55, s0, s1
	s_cselect_b64 s[0:1], -1, 0
	s_cmp_lg_u64 s[0:1], 0
	s_addc_u32 s53, s53, s54
	s_mul_i32 s0, s5, s53
	s_mul_hi_u32 s1, s5, s55
	s_add_i32 s0, s1, s0
	s_mul_i32 s52, s52, s55
	s_add_i32 s0, s0, s52
	s_mul_i32 s5, s5, s55
	s_mul_hi_u32 s52, s53, s5
	s_mul_i32 s54, s53, s5
	s_mul_i32 s57, s55, s0
	s_mul_hi_u32 s5, s55, s5
	s_mul_hi_u32 s56, s55, s0
	s_add_u32 s5, s5, s57
	s_addc_u32 s56, 0, s56
	s_add_u32 s5, s5, s54
	s_mul_hi_u32 s1, s53, s0
	s_addc_u32 s5, s56, s52
	s_addc_u32 s1, s1, 0
	s_mul_i32 s0, s53, s0
	s_add_u32 s0, s5, s0
	s_addc_u32 s5, 0, s1
	s_add_u32 s52, s55, s0
	s_cselect_b64 s[0:1], -1, 0
	s_cmp_lg_u64 s[0:1], 0
	v_add_co_u32_e32 v3, vcc, v4, v12
	s_addc_u32 s5, s53, s5
	v_xor_b32_e32 v3, v3, v12
	v_mad_u64_u32 v[10:11], s[0:1], v3, s5, 0
	v_mul_hi_u32 v14, v3, s52
	v_addc_co_u32_e32 v13, vcc, v5, v12, vcc
	v_xor_b32_e32 v15, v13, v12
	v_add_co_u32_e32 v16, vcc, v14, v10
	v_addc_co_u32_e32 v17, vcc, 0, v11, vcc
	v_mad_u64_u32 v[10:11], s[0:1], v15, s52, 0
	v_mad_u64_u32 v[13:14], s[0:1], v15, s5, 0
	v_add_co_u32_e32 v10, vcc, v16, v10
	v_addc_co_u32_e32 v10, vcc, v17, v11, vcc
	v_addc_co_u32_e32 v11, vcc, 0, v14, vcc
	v_add_co_u32_e32 v13, vcc, v10, v13
	v_addc_co_u32_e32 v14, vcc, 0, v11, vcc
	v_mul_lo_u32 v16, s51, v13
	v_mul_lo_u32 v17, s50, v14
	v_mad_u64_u32 v[10:11], s[0:1], s50, v13, 0
	v_add3_u32 v11, v11, v17, v16
	v_sub_u32_e32 v16, v15, v11
	v_mov_b32_e32 v17, s51
	v_sub_co_u32_e32 v3, vcc, v3, v10
	v_subb_co_u32_e64 v10, s[0:1], v16, v17, vcc
	v_subrev_co_u32_e64 v16, s[0:1], s50, v3
	v_subbrev_co_u32_e64 v10, s[0:1], 0, v10, s[0:1]
	v_cmp_le_u32_e64 s[0:1], s51, v10
	v_cndmask_b32_e64 v17, 0, -1, s[0:1]
	v_cmp_le_u32_e64 s[0:1], s50, v16
	v_cndmask_b32_e64 v16, 0, -1, s[0:1]
	v_cmp_eq_u32_e64 s[0:1], s51, v10
	v_cndmask_b32_e64 v10, v17, v16, s[0:1]
	v_add_co_u32_e64 v16, s[0:1], 2, v13
	v_subb_co_u32_e32 v11, vcc, v15, v11, vcc
	v_addc_co_u32_e64 v17, s[0:1], 0, v14, s[0:1]
	v_cmp_le_u32_e32 vcc, s51, v11
	v_add_co_u32_e64 v18, s[0:1], 1, v13
	v_cndmask_b32_e64 v15, 0, -1, vcc
	v_cmp_le_u32_e32 vcc, s50, v3
	v_addc_co_u32_e64 v19, s[0:1], 0, v14, s[0:1]
	v_cndmask_b32_e64 v3, 0, -1, vcc
	v_cmp_eq_u32_e32 vcc, s51, v11
	v_cmp_ne_u32_e64 s[0:1], 0, v10
	v_cndmask_b32_e32 v3, v15, v3, vcc
	v_cndmask_b32_e64 v10, v19, v17, s[0:1]
	v_cmp_ne_u32_e32 vcc, 0, v3
	v_cndmask_b32_e32 v3, v14, v10, vcc
	v_cndmask_b32_e64 v10, v18, v16, s[0:1]
	v_cndmask_b32_e32 v10, v13, v10, vcc
	v_xor_b32_e32 v11, s4, v12
	v_xor_b32_e32 v10, v10, v11
	;; [unrolled: 1-line block ×3, first 2 shown]
	v_sub_co_u32_e32 v10, vcc, v10, v11
	v_subb_co_u32_e32 v11, vcc, v3, v11, vcc
.LBB0_14:                               ;   in Loop: Header=BB0_4 Depth=1
	s_andn2_saveexec_b64 s[0:1], s[2:3]
	s_cbranch_execz .LBB0_16
; %bb.15:                               ;   in Loop: Header=BB0_4 Depth=1
	v_cvt_f32_u32_e32 v3, s66
	s_sub_i32 s2, 0, s66
	v_rcp_iflag_f32_e32 v3, v3
	v_mul_f32_e32 v3, 0x4f7ffffe, v3
	v_cvt_u32_f32_e32 v3, v3
	v_mul_lo_u32 v10, s2, v3
	v_mul_hi_u32 v10, v3, v10
	v_add_u32_e32 v3, v3, v10
	v_mul_hi_u32 v3, v0, v3
	v_mul_lo_u32 v10, v3, s66
	v_add_u32_e32 v11, 1, v3
	v_sub_u32_e32 v10, v0, v10
	v_subrev_u32_e32 v12, s66, v10
	v_cmp_le_u32_e32 vcc, s66, v10
	v_cndmask_b32_e32 v10, v10, v12, vcc
	v_cndmask_b32_e32 v3, v3, v11, vcc
	v_add_u32_e32 v11, 1, v3
	v_cmp_le_u32_e32 vcc, s66, v10
	v_cndmask_b32_e32 v10, v3, v11, vcc
	v_mov_b32_e32 v11, v2
.LBB0_16:                               ;   in Loop: Header=BB0_4 Depth=1
	s_or_b64 exec, exec, s[0:1]
	v_mul_lo_u32 v3, v7, s14
	v_mul_lo_u32 v7, v6, s15
	v_mad_u64_u32 v[12:13], s[0:1], v6, s14, 0
	v_add3_u32 v13, v13, v7, v3
	v_sub_co_u32_e32 v3, vcc, v4, v12
	v_subb_co_u32_e32 v6, vcc, v5, v13, vcc
	v_mov_b32_e32 v7, s23
	v_add_co_u32_e32 v14, vcc, s22, v3
	v_addc_co_u32_e32 v15, vcc, v6, v7, vcc
	v_cmp_lt_i64_e32 vcc, s[6:7], v[14:15]
	v_mov_b32_e32 v6, 0
	v_mov_b32_e32 v7, 0
	s_and_saveexec_b64 s[2:3], vcc
	s_cbranch_execz .LBB0_22
; %bb.17:                               ;   in Loop: Header=BB0_4 Depth=1
	v_mov_b32_e32 v3, s45
	v_add_co_u32_e32 v16, vcc, s44, v14
	v_addc_co_u32_e32 v17, vcc, v15, v3, vcc
	v_or_b32_e32 v3, s27, v17
	v_cmp_ne_u64_e32 vcc, 0, v[2:3]
                                        ; implicit-def: $vgpr6_vgpr7
	s_and_saveexec_b64 s[0:1], vcc
	s_xor_b64 s[4:5], exec, s[0:1]
	s_cbranch_execz .LBB0_19
; %bb.18:                               ;   in Loop: Header=BB0_4 Depth=1
	s_ashr_i32 s50, s27, 31
	s_add_u32 s0, s26, s50
	s_mov_b32 s51, s50
	s_addc_u32 s1, s27, s50
	s_xor_b64 s[52:53], s[0:1], s[50:51]
	v_cvt_f32_u32_e32 v3, s52
	v_cvt_f32_u32_e32 v6, s53
	s_sub_u32 s51, 0, s52
	s_subb_u32 s54, 0, s53
	v_mac_f32_e32 v3, 0x4f800000, v6
	v_rcp_f32_e32 v3, v3
	v_mul_f32_e32 v3, 0x5f7ffffc, v3
	v_mul_f32_e32 v6, 0x2f800000, v3
	v_trunc_f32_e32 v6, v6
	v_mac_f32_e32 v3, 0xcf800000, v6
	v_cvt_u32_f32_e32 v6, v6
	v_cvt_u32_f32_e32 v3, v3
	v_readfirstlane_b32 s55, v6
	v_readfirstlane_b32 s0, v3
	s_mul_i32 s1, s51, s55
	s_mul_hi_u32 s57, s51, s0
	s_mul_i32 s56, s54, s0
	s_add_i32 s1, s57, s1
	s_add_i32 s1, s1, s56
	s_mul_i32 s58, s51, s0
	s_mul_i32 s57, s0, s1
	s_mul_hi_u32 s59, s0, s58
	s_mul_hi_u32 s56, s0, s1
	s_add_u32 s57, s59, s57
	s_addc_u32 s56, 0, s56
	s_mul_hi_u32 s60, s55, s58
	s_mul_i32 s58, s55, s58
	s_add_u32 s57, s57, s58
	s_mul_hi_u32 s59, s55, s1
	s_addc_u32 s56, s56, s60
	s_addc_u32 s57, s59, 0
	s_mul_i32 s1, s55, s1
	s_add_u32 s1, s56, s1
	s_addc_u32 s56, 0, s57
	s_add_u32 s57, s0, s1
	s_cselect_b64 s[0:1], -1, 0
	s_cmp_lg_u64 s[0:1], 0
	s_addc_u32 s55, s55, s56
	s_mul_i32 s0, s51, s55
	s_mul_hi_u32 s1, s51, s57
	s_add_i32 s0, s1, s0
	s_mul_i32 s54, s54, s57
	s_add_i32 s0, s0, s54
	s_mul_i32 s51, s51, s57
	s_mul_hi_u32 s54, s55, s51
	s_mul_i32 s56, s55, s51
	s_mul_i32 s59, s57, s0
	s_mul_hi_u32 s51, s57, s51
	s_mul_hi_u32 s58, s57, s0
	s_add_u32 s51, s51, s59
	s_addc_u32 s58, 0, s58
	s_add_u32 s51, s51, s56
	s_mul_hi_u32 s1, s55, s0
	s_addc_u32 s51, s58, s54
	s_addc_u32 s1, s1, 0
	s_mul_i32 s0, s55, s0
	s_add_u32 s0, s51, s0
	s_addc_u32 s51, 0, s1
	s_add_u32 s54, s57, s0
	s_cselect_b64 s[0:1], -1, 0
	v_ashrrev_i32_e32 v3, 31, v17
	s_cmp_lg_u64 s[0:1], 0
	v_add_co_u32_e32 v6, vcc, v16, v3
	s_addc_u32 s51, s55, s51
	v_xor_b32_e32 v18, v6, v3
	v_addc_co_u32_e32 v16, vcc, v17, v3, vcc
	v_mad_u64_u32 v[6:7], s[0:1], v18, s51, 0
	v_mul_hi_u32 v17, v18, s54
	v_xor_b32_e32 v19, v16, v3
	v_xor_b32_e32 v3, s50, v3
	v_add_co_u32_e32 v20, vcc, v17, v6
	v_addc_co_u32_e32 v21, vcc, 0, v7, vcc
	v_mad_u64_u32 v[6:7], s[0:1], v19, s54, 0
	v_mad_u64_u32 v[16:17], s[0:1], v19, s51, 0
	v_add_co_u32_e32 v6, vcc, v20, v6
	v_addc_co_u32_e32 v6, vcc, v21, v7, vcc
	v_addc_co_u32_e32 v7, vcc, 0, v17, vcc
	v_add_co_u32_e32 v16, vcc, v6, v16
	v_addc_co_u32_e32 v17, vcc, 0, v7, vcc
	v_mul_lo_u32 v20, s53, v16
	v_mul_lo_u32 v21, s52, v17
	v_mad_u64_u32 v[6:7], s[0:1], s52, v16, 0
	v_add3_u32 v7, v7, v21, v20
	v_sub_u32_e32 v20, v19, v7
	v_mov_b32_e32 v21, s53
	v_sub_co_u32_e32 v6, vcc, v18, v6
	v_subb_co_u32_e64 v18, s[0:1], v20, v21, vcc
	v_subrev_co_u32_e64 v20, s[0:1], s52, v6
	v_subbrev_co_u32_e64 v18, s[0:1], 0, v18, s[0:1]
	v_cmp_le_u32_e64 s[0:1], s53, v18
	v_cndmask_b32_e64 v21, 0, -1, s[0:1]
	v_cmp_le_u32_e64 s[0:1], s52, v20
	v_cndmask_b32_e64 v20, 0, -1, s[0:1]
	v_cmp_eq_u32_e64 s[0:1], s53, v18
	v_cndmask_b32_e64 v18, v21, v20, s[0:1]
	v_add_co_u32_e64 v20, s[0:1], 2, v16
	v_subb_co_u32_e32 v7, vcc, v19, v7, vcc
	v_addc_co_u32_e64 v21, s[0:1], 0, v17, s[0:1]
	v_cmp_le_u32_e32 vcc, s53, v7
	v_add_co_u32_e64 v22, s[0:1], 1, v16
	v_cndmask_b32_e64 v19, 0, -1, vcc
	v_cmp_le_u32_e32 vcc, s52, v6
	v_addc_co_u32_e64 v23, s[0:1], 0, v17, s[0:1]
	v_cndmask_b32_e64 v6, 0, -1, vcc
	v_cmp_eq_u32_e32 vcc, s53, v7
	v_cmp_ne_u32_e64 s[0:1], 0, v18
	v_cndmask_b32_e32 v6, v19, v6, vcc
	v_cndmask_b32_e64 v18, v23, v21, s[0:1]
	v_cmp_ne_u32_e32 vcc, 0, v6
	v_cndmask_b32_e64 v7, v22, v20, s[0:1]
	v_cndmask_b32_e32 v6, v17, v18, vcc
	v_cndmask_b32_e32 v7, v16, v7, vcc
	v_xor_b32_e32 v16, v6, v3
	v_xor_b32_e32 v6, v7, v3
	v_sub_co_u32_e32 v6, vcc, v6, v3
	v_subb_co_u32_e32 v7, vcc, v16, v3, vcc
                                        ; implicit-def: $vgpr16
.LBB0_19:                               ;   in Loop: Header=BB0_4 Depth=1
	s_andn2_saveexec_b64 s[0:1], s[4:5]
	s_cbranch_execz .LBB0_21
; %bb.20:                               ;   in Loop: Header=BB0_4 Depth=1
	v_cvt_f32_u32_e32 v3, s26
	s_sub_i32 s4, 0, s26
	v_rcp_iflag_f32_e32 v3, v3
	v_mul_f32_e32 v3, 0x4f7ffffe, v3
	v_cvt_u32_f32_e32 v3, v3
	v_mul_lo_u32 v6, s4, v3
	v_mul_hi_u32 v6, v3, v6
	v_add_u32_e32 v3, v3, v6
	v_mul_hi_u32 v3, v16, v3
	v_mul_lo_u32 v6, v3, s26
	v_add_u32_e32 v7, 1, v3
	v_sub_u32_e32 v6, v16, v6
	v_subrev_u32_e32 v16, s26, v6
	v_cmp_le_u32_e32 vcc, s26, v6
	v_cndmask_b32_e32 v6, v6, v16, vcc
	v_cndmask_b32_e32 v3, v3, v7, vcc
	v_add_u32_e32 v7, 1, v3
	v_cmp_le_u32_e32 vcc, s26, v6
	v_cndmask_b32_e32 v6, v3, v7, vcc
	v_mov_b32_e32 v7, v2
.LBB0_21:                               ;   in Loop: Header=BB0_4 Depth=1
	s_or_b64 exec, exec, s[0:1]
	v_add_co_u32_e32 v6, vcc, 1, v6
	v_addc_co_u32_e32 v7, vcc, 0, v7, vcc
.LBB0_22:                               ;   in Loop: Header=BB0_4 Depth=1
	s_or_b64 exec, exec, s[2:3]
	v_or_b32_e32 v3, s27, v15
	v_cmp_ne_u64_e32 vcc, 0, v[2:3]
                                        ; implicit-def: $vgpr18_vgpr19
	s_and_saveexec_b64 s[0:1], vcc
	s_xor_b64 s[2:3], exec, s[0:1]
	s_cbranch_execz .LBB0_24
; %bb.23:                               ;   in Loop: Header=BB0_4 Depth=1
	s_ashr_i32 s4, s27, 31
	s_add_u32 s0, s26, s4
	s_mov_b32 s5, s4
	s_addc_u32 s1, s27, s4
	s_xor_b64 s[50:51], s[0:1], s[4:5]
	v_cvt_f32_u32_e32 v3, s50
	v_cvt_f32_u32_e32 v16, s51
	s_sub_u32 s5, 0, s50
	s_subb_u32 s52, 0, s51
	v_mac_f32_e32 v3, 0x4f800000, v16
	v_rcp_f32_e32 v3, v3
	v_mul_f32_e32 v3, 0x5f7ffffc, v3
	v_mul_f32_e32 v16, 0x2f800000, v3
	v_trunc_f32_e32 v16, v16
	v_mac_f32_e32 v3, 0xcf800000, v16
	v_cvt_u32_f32_e32 v16, v16
	v_cvt_u32_f32_e32 v3, v3
	v_readfirstlane_b32 s53, v16
	v_readfirstlane_b32 s0, v3
	s_mul_i32 s1, s5, s53
	s_mul_hi_u32 s55, s5, s0
	s_mul_i32 s54, s52, s0
	s_add_i32 s1, s55, s1
	s_add_i32 s1, s1, s54
	s_mul_i32 s56, s5, s0
	s_mul_i32 s55, s0, s1
	s_mul_hi_u32 s57, s0, s56
	s_mul_hi_u32 s54, s0, s1
	s_add_u32 s55, s57, s55
	s_addc_u32 s54, 0, s54
	s_mul_hi_u32 s58, s53, s56
	s_mul_i32 s56, s53, s56
	s_add_u32 s55, s55, s56
	s_mul_hi_u32 s57, s53, s1
	s_addc_u32 s54, s54, s58
	s_addc_u32 s55, s57, 0
	s_mul_i32 s1, s53, s1
	s_add_u32 s1, s54, s1
	s_addc_u32 s54, 0, s55
	s_add_u32 s55, s0, s1
	s_cselect_b64 s[0:1], -1, 0
	s_cmp_lg_u64 s[0:1], 0
	s_addc_u32 s53, s53, s54
	s_mul_i32 s0, s5, s53
	s_mul_hi_u32 s1, s5, s55
	s_add_i32 s0, s1, s0
	s_mul_i32 s52, s52, s55
	s_add_i32 s0, s0, s52
	s_mul_i32 s5, s5, s55
	s_mul_hi_u32 s52, s53, s5
	s_mul_i32 s54, s53, s5
	s_mul_i32 s57, s55, s0
	s_mul_hi_u32 s5, s55, s5
	s_mul_hi_u32 s56, s55, s0
	s_add_u32 s5, s5, s57
	s_addc_u32 s56, 0, s56
	s_add_u32 s5, s5, s54
	s_mul_hi_u32 s1, s53, s0
	s_addc_u32 s5, s56, s52
	s_addc_u32 s1, s1, 0
	s_mul_i32 s0, s53, s0
	s_add_u32 s0, s5, s0
	s_addc_u32 s5, 0, s1
	s_add_u32 s52, s55, s0
	s_cselect_b64 s[0:1], -1, 0
	v_ashrrev_i32_e32 v3, 31, v15
	s_cmp_lg_u64 s[0:1], 0
	v_add_co_u32_e32 v14, vcc, v14, v3
	s_addc_u32 s5, s53, s5
	v_xor_b32_e32 v18, v14, v3
	v_addc_co_u32_e32 v16, vcc, v15, v3, vcc
	v_mad_u64_u32 v[14:15], s[0:1], v18, s5, 0
	v_mul_hi_u32 v17, v18, s52
	v_xor_b32_e32 v19, v16, v3
	v_xor_b32_e32 v3, s4, v3
	v_add_co_u32_e32 v20, vcc, v17, v14
	v_addc_co_u32_e32 v21, vcc, 0, v15, vcc
	v_mad_u64_u32 v[14:15], s[0:1], v19, s52, 0
	v_mad_u64_u32 v[16:17], s[0:1], v19, s5, 0
	v_add_co_u32_e32 v14, vcc, v20, v14
	v_addc_co_u32_e32 v14, vcc, v21, v15, vcc
	v_addc_co_u32_e32 v15, vcc, 0, v17, vcc
	v_add_co_u32_e32 v16, vcc, v14, v16
	v_addc_co_u32_e32 v17, vcc, 0, v15, vcc
	v_mul_lo_u32 v20, s51, v16
	v_mul_lo_u32 v21, s50, v17
	v_mad_u64_u32 v[14:15], s[0:1], s50, v16, 0
	v_add3_u32 v15, v15, v21, v20
	v_sub_u32_e32 v20, v19, v15
	v_mov_b32_e32 v21, s51
	v_sub_co_u32_e32 v14, vcc, v18, v14
	v_subb_co_u32_e64 v18, s[0:1], v20, v21, vcc
	v_subrev_co_u32_e64 v20, s[0:1], s50, v14
	v_subbrev_co_u32_e64 v18, s[0:1], 0, v18, s[0:1]
	v_cmp_le_u32_e64 s[0:1], s51, v18
	v_cndmask_b32_e64 v21, 0, -1, s[0:1]
	v_cmp_le_u32_e64 s[0:1], s50, v20
	v_cndmask_b32_e64 v20, 0, -1, s[0:1]
	v_cmp_eq_u32_e64 s[0:1], s51, v18
	v_cndmask_b32_e64 v18, v21, v20, s[0:1]
	v_add_co_u32_e64 v20, s[0:1], 2, v16
	v_subb_co_u32_e32 v15, vcc, v19, v15, vcc
	v_addc_co_u32_e64 v21, s[0:1], 0, v17, s[0:1]
	v_cmp_le_u32_e32 vcc, s51, v15
	v_add_co_u32_e64 v22, s[0:1], 1, v16
	v_cndmask_b32_e64 v19, 0, -1, vcc
	v_cmp_le_u32_e32 vcc, s50, v14
	v_addc_co_u32_e64 v23, s[0:1], 0, v17, s[0:1]
	v_cndmask_b32_e64 v14, 0, -1, vcc
	v_cmp_eq_u32_e32 vcc, s51, v15
	v_cmp_ne_u32_e64 s[0:1], 0, v18
	v_cndmask_b32_e32 v14, v19, v14, vcc
	v_cmp_ne_u32_e32 vcc, 0, v14
	v_cndmask_b32_e64 v15, v22, v20, s[0:1]
	v_cndmask_b32_e64 v18, v23, v21, s[0:1]
	v_cndmask_b32_e32 v15, v16, v15, vcc
	v_cndmask_b32_e32 v14, v17, v18, vcc
	v_xor_b32_e32 v15, v15, v3
	v_xor_b32_e32 v14, v14, v3
	v_sub_co_u32_e32 v18, vcc, v15, v3
	v_subb_co_u32_e32 v19, vcc, v14, v3, vcc
                                        ; implicit-def: $vgpr14
.LBB0_24:                               ;   in Loop: Header=BB0_4 Depth=1
	s_andn2_saveexec_b64 s[0:1], s[2:3]
	s_cbranch_execz .LBB0_26
; %bb.25:                               ;   in Loop: Header=BB0_4 Depth=1
	v_cvt_f32_u32_e32 v3, s26
	s_sub_i32 s2, 0, s26
	v_mov_b32_e32 v19, v2
	v_rcp_iflag_f32_e32 v3, v3
	v_mul_f32_e32 v3, 0x4f7ffffe, v3
	v_cvt_u32_f32_e32 v3, v3
	v_mul_lo_u32 v15, s2, v3
	v_mul_hi_u32 v15, v3, v15
	v_add_u32_e32 v3, v3, v15
	v_mul_hi_u32 v3, v14, v3
	v_mul_lo_u32 v15, v3, s26
	v_add_u32_e32 v16, 1, v3
	v_sub_u32_e32 v14, v14, v15
	v_subrev_u32_e32 v15, s26, v14
	v_cmp_le_u32_e32 vcc, s26, v14
	v_cndmask_b32_e32 v14, v14, v15, vcc
	v_cndmask_b32_e32 v3, v3, v16, vcc
	v_add_u32_e32 v15, 1, v3
	v_cmp_le_u32_e32 vcc, s26, v14
	v_cndmask_b32_e32 v18, v3, v15, vcc
.LBB0_26:                               ;   in Loop: Header=BB0_4 Depth=1
	s_or_b64 exec, exec, s[0:1]
	v_mov_b32_e32 v3, s21
	v_add_co_u32_e32 v8, vcc, s20, v8
	v_addc_co_u32_e32 v9, vcc, v9, v3, vcc
	v_cmp_lt_i64_e32 vcc, s[34:35], v[8:9]
	v_mov_b32_e32 v14, 0
	v_mov_b32_e32 v15, 0
	s_and_saveexec_b64 s[2:3], vcc
	s_cbranch_execz .LBB0_32
; %bb.27:                               ;   in Loop: Header=BB0_4 Depth=1
	v_mov_b32_e32 v3, s43
	v_add_co_u32_e32 v16, vcc, s42, v8
	v_addc_co_u32_e32 v17, vcc, v9, v3, vcc
	v_or_b32_e32 v3, s25, v17
	v_cmp_ne_u64_e32 vcc, 0, v[2:3]
                                        ; implicit-def: $vgpr14_vgpr15
	s_and_saveexec_b64 s[0:1], vcc
	s_xor_b64 s[4:5], exec, s[0:1]
	s_cbranch_execz .LBB0_29
; %bb.28:                               ;   in Loop: Header=BB0_4 Depth=1
	s_ashr_i32 s50, s25, 31
	s_add_u32 s0, s24, s50
	s_mov_b32 s51, s50
	s_addc_u32 s1, s25, s50
	s_xor_b64 s[52:53], s[0:1], s[50:51]
	v_cvt_f32_u32_e32 v3, s52
	v_cvt_f32_u32_e32 v14, s53
	s_sub_u32 s51, 0, s52
	s_subb_u32 s54, 0, s53
	v_mac_f32_e32 v3, 0x4f800000, v14
	v_rcp_f32_e32 v3, v3
	v_mul_f32_e32 v3, 0x5f7ffffc, v3
	v_mul_f32_e32 v14, 0x2f800000, v3
	v_trunc_f32_e32 v14, v14
	v_mac_f32_e32 v3, 0xcf800000, v14
	v_cvt_u32_f32_e32 v14, v14
	v_cvt_u32_f32_e32 v3, v3
	v_readfirstlane_b32 s55, v14
	v_readfirstlane_b32 s0, v3
	s_mul_i32 s1, s51, s55
	s_mul_hi_u32 s57, s51, s0
	s_mul_i32 s56, s54, s0
	s_add_i32 s1, s57, s1
	s_add_i32 s1, s1, s56
	s_mul_i32 s58, s51, s0
	s_mul_i32 s57, s0, s1
	s_mul_hi_u32 s59, s0, s58
	s_mul_hi_u32 s56, s0, s1
	s_add_u32 s57, s59, s57
	s_addc_u32 s56, 0, s56
	s_mul_hi_u32 s60, s55, s58
	s_mul_i32 s58, s55, s58
	s_add_u32 s57, s57, s58
	s_mul_hi_u32 s59, s55, s1
	s_addc_u32 s56, s56, s60
	s_addc_u32 s57, s59, 0
	s_mul_i32 s1, s55, s1
	s_add_u32 s1, s56, s1
	s_addc_u32 s56, 0, s57
	s_add_u32 s57, s0, s1
	s_cselect_b64 s[0:1], -1, 0
	s_cmp_lg_u64 s[0:1], 0
	s_addc_u32 s55, s55, s56
	s_mul_i32 s0, s51, s55
	s_mul_hi_u32 s1, s51, s57
	s_add_i32 s0, s1, s0
	s_mul_i32 s54, s54, s57
	s_add_i32 s0, s0, s54
	s_mul_i32 s51, s51, s57
	s_mul_hi_u32 s54, s55, s51
	s_mul_i32 s56, s55, s51
	s_mul_i32 s59, s57, s0
	s_mul_hi_u32 s51, s57, s51
	s_mul_hi_u32 s58, s57, s0
	s_add_u32 s51, s51, s59
	s_addc_u32 s58, 0, s58
	s_add_u32 s51, s51, s56
	s_mul_hi_u32 s1, s55, s0
	s_addc_u32 s51, s58, s54
	s_addc_u32 s1, s1, 0
	s_mul_i32 s0, s55, s0
	s_add_u32 s0, s51, s0
	s_addc_u32 s51, 0, s1
	s_add_u32 s54, s57, s0
	s_cselect_b64 s[0:1], -1, 0
	v_ashrrev_i32_e32 v3, 31, v17
	s_cmp_lg_u64 s[0:1], 0
	v_add_co_u32_e32 v14, vcc, v16, v3
	s_addc_u32 s51, s55, s51
	v_xor_b32_e32 v20, v14, v3
	v_addc_co_u32_e32 v16, vcc, v17, v3, vcc
	v_mad_u64_u32 v[14:15], s[0:1], v20, s51, 0
	v_mul_hi_u32 v17, v20, s54
	v_xor_b32_e32 v21, v16, v3
	v_xor_b32_e32 v3, s50, v3
	v_add_co_u32_e32 v22, vcc, v17, v14
	v_addc_co_u32_e32 v23, vcc, 0, v15, vcc
	v_mad_u64_u32 v[14:15], s[0:1], v21, s54, 0
	v_mad_u64_u32 v[16:17], s[0:1], v21, s51, 0
	v_add_co_u32_e32 v14, vcc, v22, v14
	v_addc_co_u32_e32 v14, vcc, v23, v15, vcc
	v_addc_co_u32_e32 v15, vcc, 0, v17, vcc
	v_add_co_u32_e32 v16, vcc, v14, v16
	v_addc_co_u32_e32 v17, vcc, 0, v15, vcc
	v_mul_lo_u32 v22, s53, v16
	v_mul_lo_u32 v23, s52, v17
	v_mad_u64_u32 v[14:15], s[0:1], s52, v16, 0
	v_add3_u32 v15, v15, v23, v22
	v_sub_u32_e32 v22, v21, v15
	v_mov_b32_e32 v23, s53
	v_sub_co_u32_e32 v14, vcc, v20, v14
	v_subb_co_u32_e64 v20, s[0:1], v22, v23, vcc
	v_subrev_co_u32_e64 v22, s[0:1], s52, v14
	v_subbrev_co_u32_e64 v20, s[0:1], 0, v20, s[0:1]
	v_cmp_le_u32_e64 s[0:1], s53, v20
	v_cndmask_b32_e64 v23, 0, -1, s[0:1]
	v_cmp_le_u32_e64 s[0:1], s52, v22
	v_cndmask_b32_e64 v22, 0, -1, s[0:1]
	v_cmp_eq_u32_e64 s[0:1], s53, v20
	v_cndmask_b32_e64 v20, v23, v22, s[0:1]
	v_add_co_u32_e64 v22, s[0:1], 2, v16
	v_subb_co_u32_e32 v15, vcc, v21, v15, vcc
	v_addc_co_u32_e64 v23, s[0:1], 0, v17, s[0:1]
	v_cmp_le_u32_e32 vcc, s53, v15
	v_add_co_u32_e64 v24, s[0:1], 1, v16
	v_cndmask_b32_e64 v21, 0, -1, vcc
	v_cmp_le_u32_e32 vcc, s52, v14
	v_addc_co_u32_e64 v25, s[0:1], 0, v17, s[0:1]
	v_cndmask_b32_e64 v14, 0, -1, vcc
	v_cmp_eq_u32_e32 vcc, s53, v15
	v_cmp_ne_u32_e64 s[0:1], 0, v20
	v_cndmask_b32_e32 v14, v21, v14, vcc
	v_cndmask_b32_e64 v20, v25, v23, s[0:1]
	v_cmp_ne_u32_e32 vcc, 0, v14
	v_cndmask_b32_e64 v15, v24, v22, s[0:1]
	v_cndmask_b32_e32 v14, v17, v20, vcc
	v_cndmask_b32_e32 v15, v16, v15, vcc
	v_xor_b32_e32 v16, v14, v3
	v_xor_b32_e32 v14, v15, v3
	v_sub_co_u32_e32 v14, vcc, v14, v3
	v_subb_co_u32_e32 v15, vcc, v16, v3, vcc
                                        ; implicit-def: $vgpr16
.LBB0_29:                               ;   in Loop: Header=BB0_4 Depth=1
	s_andn2_saveexec_b64 s[0:1], s[4:5]
	s_cbranch_execz .LBB0_31
; %bb.30:                               ;   in Loop: Header=BB0_4 Depth=1
	v_cvt_f32_u32_e32 v3, s24
	s_sub_i32 s4, 0, s24
	v_rcp_iflag_f32_e32 v3, v3
	v_mul_f32_e32 v3, 0x4f7ffffe, v3
	v_cvt_u32_f32_e32 v3, v3
	v_mul_lo_u32 v14, s4, v3
	v_mul_hi_u32 v14, v3, v14
	v_add_u32_e32 v3, v3, v14
	v_mul_hi_u32 v3, v16, v3
	v_mul_lo_u32 v14, v3, s24
	v_add_u32_e32 v15, 1, v3
	v_sub_u32_e32 v14, v16, v14
	v_subrev_u32_e32 v16, s24, v14
	v_cmp_le_u32_e32 vcc, s24, v14
	v_cndmask_b32_e32 v14, v14, v16, vcc
	v_cndmask_b32_e32 v3, v3, v15, vcc
	v_add_u32_e32 v15, 1, v3
	v_cmp_le_u32_e32 vcc, s24, v14
	v_cndmask_b32_e32 v14, v3, v15, vcc
	v_mov_b32_e32 v15, v2
.LBB0_31:                               ;   in Loop: Header=BB0_4 Depth=1
	s_or_b64 exec, exec, s[0:1]
	v_add_co_u32_e32 v14, vcc, 1, v14
	v_addc_co_u32_e32 v15, vcc, 0, v15, vcc
.LBB0_32:                               ;   in Loop: Header=BB0_4 Depth=1
	s_or_b64 exec, exec, s[2:3]
	v_or_b32_e32 v3, s25, v9
	v_cmp_ne_u64_e32 vcc, 0, v[2:3]
                                        ; implicit-def: $vgpr16_vgpr17
	s_and_saveexec_b64 s[0:1], vcc
	s_xor_b64 s[2:3], exec, s[0:1]
	s_cbranch_execz .LBB0_34
; %bb.33:                               ;   in Loop: Header=BB0_4 Depth=1
	s_ashr_i32 s4, s25, 31
	s_add_u32 s0, s24, s4
	s_mov_b32 s5, s4
	s_addc_u32 s1, s25, s4
	s_xor_b64 s[50:51], s[0:1], s[4:5]
	v_cvt_f32_u32_e32 v3, s50
	v_cvt_f32_u32_e32 v16, s51
	s_sub_u32 s5, 0, s50
	s_subb_u32 s52, 0, s51
	v_mac_f32_e32 v3, 0x4f800000, v16
	v_rcp_f32_e32 v3, v3
	v_mul_f32_e32 v3, 0x5f7ffffc, v3
	v_mul_f32_e32 v16, 0x2f800000, v3
	v_trunc_f32_e32 v16, v16
	v_mac_f32_e32 v3, 0xcf800000, v16
	v_cvt_u32_f32_e32 v16, v16
	v_cvt_u32_f32_e32 v3, v3
	v_readfirstlane_b32 s53, v16
	v_readfirstlane_b32 s0, v3
	s_mul_i32 s1, s5, s53
	s_mul_hi_u32 s55, s5, s0
	s_mul_i32 s54, s52, s0
	s_add_i32 s1, s55, s1
	s_add_i32 s1, s1, s54
	s_mul_i32 s56, s5, s0
	s_mul_i32 s55, s0, s1
	s_mul_hi_u32 s57, s0, s56
	s_mul_hi_u32 s54, s0, s1
	s_add_u32 s55, s57, s55
	s_addc_u32 s54, 0, s54
	s_mul_hi_u32 s58, s53, s56
	s_mul_i32 s56, s53, s56
	s_add_u32 s55, s55, s56
	s_mul_hi_u32 s57, s53, s1
	s_addc_u32 s54, s54, s58
	s_addc_u32 s55, s57, 0
	s_mul_i32 s1, s53, s1
	s_add_u32 s1, s54, s1
	s_addc_u32 s54, 0, s55
	s_add_u32 s55, s0, s1
	s_cselect_b64 s[0:1], -1, 0
	s_cmp_lg_u64 s[0:1], 0
	s_addc_u32 s53, s53, s54
	s_mul_i32 s0, s5, s53
	s_mul_hi_u32 s1, s5, s55
	s_add_i32 s0, s1, s0
	s_mul_i32 s52, s52, s55
	s_add_i32 s0, s0, s52
	s_mul_i32 s5, s5, s55
	s_mul_hi_u32 s52, s53, s5
	s_mul_i32 s54, s53, s5
	s_mul_i32 s57, s55, s0
	s_mul_hi_u32 s5, s55, s5
	s_mul_hi_u32 s56, s55, s0
	s_add_u32 s5, s5, s57
	s_addc_u32 s56, 0, s56
	s_add_u32 s5, s5, s54
	s_mul_hi_u32 s1, s53, s0
	s_addc_u32 s5, s56, s52
	s_addc_u32 s1, s1, 0
	s_mul_i32 s0, s53, s0
	s_add_u32 s0, s5, s0
	s_addc_u32 s5, 0, s1
	s_add_u32 s52, s55, s0
	s_cselect_b64 s[0:1], -1, 0
	v_ashrrev_i32_e32 v3, 31, v9
	s_cmp_lg_u64 s[0:1], 0
	v_add_co_u32_e32 v16, vcc, v8, v3
	s_addc_u32 s5, s53, s5
	v_xor_b32_e32 v22, v16, v3
	v_mad_u64_u32 v[16:17], s[0:1], v22, s5, 0
	v_mul_hi_u32 v21, v22, s52
	v_addc_co_u32_e32 v20, vcc, v9, v3, vcc
	v_xor_b32_e32 v23, v20, v3
	v_add_co_u32_e32 v24, vcc, v21, v16
	v_addc_co_u32_e32 v25, vcc, 0, v17, vcc
	v_mad_u64_u32 v[16:17], s[0:1], v23, s52, 0
	v_mad_u64_u32 v[20:21], s[0:1], v23, s5, 0
	v_add_co_u32_e32 v16, vcc, v24, v16
	v_addc_co_u32_e32 v16, vcc, v25, v17, vcc
	v_addc_co_u32_e32 v17, vcc, 0, v21, vcc
	v_add_co_u32_e32 v20, vcc, v16, v20
	v_addc_co_u32_e32 v21, vcc, 0, v17, vcc
	v_mul_lo_u32 v24, s51, v20
	v_mul_lo_u32 v25, s50, v21
	v_mad_u64_u32 v[16:17], s[0:1], s50, v20, 0
	v_xor_b32_e32 v3, s4, v3
	v_add3_u32 v17, v17, v25, v24
	v_sub_u32_e32 v24, v23, v17
	v_mov_b32_e32 v25, s51
	v_sub_co_u32_e32 v16, vcc, v22, v16
	v_subb_co_u32_e64 v22, s[0:1], v24, v25, vcc
	v_subrev_co_u32_e64 v24, s[0:1], s50, v16
	v_subbrev_co_u32_e64 v22, s[0:1], 0, v22, s[0:1]
	v_cmp_le_u32_e64 s[0:1], s51, v22
	v_cndmask_b32_e64 v25, 0, -1, s[0:1]
	v_cmp_le_u32_e64 s[0:1], s50, v24
	v_cndmask_b32_e64 v24, 0, -1, s[0:1]
	v_cmp_eq_u32_e64 s[0:1], s51, v22
	v_cndmask_b32_e64 v22, v25, v24, s[0:1]
	v_add_co_u32_e64 v24, s[0:1], 2, v20
	v_subb_co_u32_e32 v17, vcc, v23, v17, vcc
	v_addc_co_u32_e64 v25, s[0:1], 0, v21, s[0:1]
	v_cmp_le_u32_e32 vcc, s51, v17
	v_add_co_u32_e64 v26, s[0:1], 1, v20
	v_cndmask_b32_e64 v23, 0, -1, vcc
	v_cmp_le_u32_e32 vcc, s50, v16
	v_addc_co_u32_e64 v27, s[0:1], 0, v21, s[0:1]
	v_cndmask_b32_e64 v16, 0, -1, vcc
	v_cmp_eq_u32_e32 vcc, s51, v17
	v_cmp_ne_u32_e64 s[0:1], 0, v22
	v_cndmask_b32_e32 v16, v23, v16, vcc
	v_cndmask_b32_e64 v22, v27, v25, s[0:1]
	v_cmp_ne_u32_e32 vcc, 0, v16
	v_cndmask_b32_e64 v17, v26, v24, s[0:1]
	v_cndmask_b32_e32 v16, v21, v22, vcc
	v_cndmask_b32_e32 v17, v20, v17, vcc
	v_xor_b32_e32 v20, v16, v3
	v_xor_b32_e32 v16, v17, v3
	v_sub_co_u32_e32 v16, vcc, v16, v3
	v_subb_co_u32_e32 v17, vcc, v20, v3, vcc
.LBB0_34:                               ;   in Loop: Header=BB0_4 Depth=1
	s_andn2_saveexec_b64 s[0:1], s[2:3]
	s_cbranch_execz .LBB0_36
; %bb.35:                               ;   in Loop: Header=BB0_4 Depth=1
	v_cvt_f32_u32_e32 v3, s24
	s_sub_i32 s2, 0, s24
	v_rcp_iflag_f32_e32 v3, v3
	v_mul_f32_e32 v3, 0x4f7ffffe, v3
	v_cvt_u32_f32_e32 v3, v3
	v_mul_lo_u32 v16, s2, v3
	v_mul_hi_u32 v16, v3, v16
	v_add_u32_e32 v3, v3, v16
	v_mul_hi_u32 v3, v8, v3
	v_mul_lo_u32 v16, v3, s24
	v_add_u32_e32 v17, 1, v3
	v_sub_u32_e32 v16, v8, v16
	v_subrev_u32_e32 v20, s24, v16
	v_cmp_le_u32_e32 vcc, s24, v16
	v_cndmask_b32_e32 v16, v16, v20, vcc
	v_cndmask_b32_e32 v3, v3, v17, vcc
	v_add_u32_e32 v17, 1, v3
	v_cmp_le_u32_e32 vcc, s24, v16
	v_cndmask_b32_e32 v16, v3, v17, vcc
	v_mov_b32_e32 v17, v2
.LBB0_36:                               ;   in Loop: Header=BB0_4 Depth=1
	s_or_b64 exec, exec, s[0:1]
	v_add_co_u32_e32 v16, vcc, 1, v16
	v_addc_co_u32_e32 v17, vcc, 0, v17, vcc
	v_cmp_gt_i64_e32 vcc, s[36:37], v[16:17]
	v_mov_b32_e32 v3, s37
	v_cndmask_b32_e32 v17, v3, v17, vcc
	v_mov_b32_e32 v3, s36
	v_cndmask_b32_e32 v16, v3, v16, vcc
	v_cmp_lt_i64_e32 vcc, v[14:15], v[16:17]
	v_mov_b32_e32 v20, 0
	v_mov_b32_e32 v21, 0
	s_and_saveexec_b64 s[50:51], vcc
	s_cbranch_execz .LBB0_3
; %bb.37:                               ;   in Loop: Header=BB0_4 Depth=1
	v_add_co_u32_e32 v18, vcc, 1, v18
	v_addc_co_u32_e32 v19, vcc, 0, v19, vcc
	v_cmp_gt_i64_e32 vcc, s[38:39], v[18:19]
	v_mov_b32_e32 v3, s39
	v_cndmask_b32_e32 v19, v3, v19, vcc
	v_mul_lo_u32 v3, v11, s16
	v_mul_lo_u32 v20, v10, s17
	v_mad_u64_u32 v[10:11], s[0:1], v10, s16, 0
	v_mov_b32_e32 v21, s38
	v_cndmask_b32_e32 v18, v21, v18, vcc
	v_add3_u32 v11, v11, v20, v3
	v_lshlrev_b64 v[20:21], 3, v[6:7]
	v_mov_b32_e32 v3, s11
	v_add_co_u32_e32 v22, vcc, s10, v20
	v_addc_co_u32_e32 v23, vcc, v3, v21, vcc
	v_mul_lo_u32 v24, s27, v6
	v_mul_lo_u32 v25, s26, v7
	v_mad_u64_u32 v[20:21], s[2:3], s26, v6, 0
	v_mov_b32_e32 v3, s23
	v_add_co_u32_e32 v26, vcc, s22, v4
	v_addc_co_u32_e32 v3, vcc, v3, v5, vcc
	v_add3_u32 v21, v21, v25, v24
	v_sub_co_u32_e32 v20, vcc, v26, v20
	v_subb_co_u32_e32 v3, vcc, v3, v21, vcc
	v_cmp_lt_i64_e64 s[0:1], v[6:7], v[18:19]
	v_sub_co_u32_e32 v12, vcc, v20, v12
	v_mov_b32_e32 v20, 0
	v_subb_co_u32_e32 v13, vcc, v3, v13, vcc
	v_mov_b32_e32 v21, 0
	s_mov_b64 s[52:53], 0
	s_branch .LBB0_40
.LBB0_38:                               ;   in Loop: Header=BB0_40 Depth=2
	s_or_b64 exec, exec, s[56:57]
.LBB0_39:                               ;   in Loop: Header=BB0_40 Depth=2
	s_or_b64 exec, exec, s[54:55]
	v_add_co_u32_e32 v14, vcc, 1, v14
	v_addc_co_u32_e32 v15, vcc, 0, v15, vcc
	v_cmp_ge_i64_e32 vcc, v[14:15], v[16:17]
	s_or_b64 s[52:53], vcc, s[52:53]
	s_andn2_b64 exec, exec, s[52:53]
	s_cbranch_execz .LBB0_2
.LBB0_40:                               ;   Parent Loop BB0_4 Depth=1
                                        ; =>  This Loop Header: Depth=2
                                        ;       Child Loop BB0_48 Depth 3
	s_and_saveexec_b64 s[54:55], s[0:1]
	s_cbranch_execz .LBB0_39
; %bb.41:                               ;   in Loop: Header=BB0_40 Depth=2
	v_mul_lo_u32 v3, v15, s24
	v_mul_lo_u32 v26, v14, s25
	v_mad_u64_u32 v[24:25], s[2:3], v14, s24, 0
	v_add3_u32 v3, v25, v26, v3
	v_sub_co_u32_e32 v26, vcc, v8, v24
	v_subb_co_u32_e32 v27, vcc, v9, v3, vcc
	v_or_b32_e32 v3, s29, v27
	v_cmp_ne_u64_e32 vcc, 0, v[2:3]
                                        ; implicit-def: $vgpr24_vgpr25
	s_and_saveexec_b64 s[2:3], vcc
	s_xor_b64 s[4:5], exec, s[2:3]
	s_cbranch_execz .LBB0_43
; %bb.42:                               ;   in Loop: Header=BB0_40 Depth=2
	s_ashr_i32 s56, s29, 31
	s_add_u32 s2, s28, s56
	s_mov_b32 s57, s56
	s_addc_u32 s3, s29, s56
	s_xor_b64 s[58:59], s[2:3], s[56:57]
	v_cvt_f32_u32_e32 v3, s58
	v_cvt_f32_u32_e32 v24, s59
	s_sub_u32 s57, 0, s58
	s_subb_u32 s60, 0, s59
	v_mac_f32_e32 v3, 0x4f800000, v24
	v_rcp_f32_e32 v3, v3
	v_mul_f32_e32 v3, 0x5f7ffffc, v3
	v_mul_f32_e32 v24, 0x2f800000, v3
	v_trunc_f32_e32 v24, v24
	v_mac_f32_e32 v3, 0xcf800000, v24
	v_cvt_u32_f32_e32 v24, v24
	v_cvt_u32_f32_e32 v3, v3
	v_readfirstlane_b32 s61, v24
	v_readfirstlane_b32 s2, v3
	s_mul_i32 s3, s57, s61
	s_mul_hi_u32 s63, s57, s2
	s_mul_i32 s62, s60, s2
	s_add_i32 s3, s63, s3
	s_add_i32 s3, s3, s62
	s_mul_i32 s64, s57, s2
	s_mul_i32 s63, s2, s3
	s_mul_hi_u32 s65, s2, s64
	s_mul_hi_u32 s62, s2, s3
	s_add_u32 s63, s65, s63
	s_addc_u32 s62, 0, s62
	s_mul_hi_u32 s68, s61, s64
	s_mul_i32 s64, s61, s64
	s_add_u32 s63, s63, s64
	s_mul_hi_u32 s65, s61, s3
	s_addc_u32 s62, s62, s68
	s_addc_u32 s63, s65, 0
	s_mul_i32 s3, s61, s3
	s_add_u32 s3, s62, s3
	s_addc_u32 s62, 0, s63
	s_add_u32 s63, s2, s3
	s_cselect_b64 s[2:3], -1, 0
	s_cmp_lg_u64 s[2:3], 0
	s_addc_u32 s61, s61, s62
	s_mul_i32 s2, s57, s61
	s_mul_hi_u32 s3, s57, s63
	s_add_i32 s2, s3, s2
	s_mul_i32 s60, s60, s63
	s_add_i32 s2, s2, s60
	s_mul_i32 s57, s57, s63
	s_mul_hi_u32 s60, s61, s57
	s_mul_i32 s62, s61, s57
	s_mul_i32 s65, s63, s2
	s_mul_hi_u32 s57, s63, s57
	s_mul_hi_u32 s64, s63, s2
	s_add_u32 s57, s57, s65
	s_addc_u32 s64, 0, s64
	s_add_u32 s57, s57, s62
	s_mul_hi_u32 s3, s61, s2
	s_addc_u32 s57, s64, s60
	s_addc_u32 s3, s3, 0
	s_mul_i32 s2, s61, s2
	s_add_u32 s2, s57, s2
	s_addc_u32 s57, 0, s3
	s_add_u32 s60, s63, s2
	s_cselect_b64 s[2:3], -1, 0
	v_ashrrev_i32_e32 v3, 31, v27
	s_cmp_lg_u64 s[2:3], 0
	v_add_co_u32_e32 v24, vcc, v26, v3
	s_addc_u32 s57, s61, s57
	v_xor_b32_e32 v30, v24, v3
	v_mad_u64_u32 v[24:25], s[2:3], v30, s57, 0
	v_mul_hi_u32 v29, v30, s60
	v_addc_co_u32_e32 v28, vcc, v27, v3, vcc
	v_xor_b32_e32 v31, v28, v3
	v_add_co_u32_e32 v32, vcc, v29, v24
	v_addc_co_u32_e32 v33, vcc, 0, v25, vcc
	v_mad_u64_u32 v[24:25], s[2:3], v31, s60, 0
	v_mad_u64_u32 v[28:29], s[2:3], v31, s57, 0
	v_add_co_u32_e32 v24, vcc, v32, v24
	v_addc_co_u32_e32 v24, vcc, v33, v25, vcc
	v_addc_co_u32_e32 v25, vcc, 0, v29, vcc
	v_add_co_u32_e32 v28, vcc, v24, v28
	v_addc_co_u32_e32 v29, vcc, 0, v25, vcc
	v_mul_lo_u32 v32, s59, v28
	v_mul_lo_u32 v33, s58, v29
	v_mad_u64_u32 v[24:25], s[2:3], s58, v28, 0
	v_xor_b32_e32 v3, s56, v3
	v_add3_u32 v25, v25, v33, v32
	v_sub_u32_e32 v32, v31, v25
	v_mov_b32_e32 v33, s59
	v_sub_co_u32_e32 v24, vcc, v30, v24
	v_subb_co_u32_e64 v30, s[2:3], v32, v33, vcc
	v_subrev_co_u32_e64 v32, s[2:3], s58, v24
	v_subbrev_co_u32_e64 v30, s[2:3], 0, v30, s[2:3]
	v_cmp_le_u32_e64 s[2:3], s59, v30
	v_cndmask_b32_e64 v33, 0, -1, s[2:3]
	v_cmp_le_u32_e64 s[2:3], s58, v32
	v_cndmask_b32_e64 v32, 0, -1, s[2:3]
	v_cmp_eq_u32_e64 s[2:3], s59, v30
	v_cndmask_b32_e64 v30, v33, v32, s[2:3]
	v_add_co_u32_e64 v32, s[2:3], 2, v28
	v_subb_co_u32_e32 v25, vcc, v31, v25, vcc
	v_addc_co_u32_e64 v33, s[2:3], 0, v29, s[2:3]
	v_cmp_le_u32_e32 vcc, s59, v25
	v_add_co_u32_e64 v34, s[2:3], 1, v28
	v_cndmask_b32_e64 v31, 0, -1, vcc
	v_cmp_le_u32_e32 vcc, s58, v24
	v_addc_co_u32_e64 v35, s[2:3], 0, v29, s[2:3]
	v_cndmask_b32_e64 v24, 0, -1, vcc
	v_cmp_eq_u32_e32 vcc, s59, v25
	v_cmp_ne_u32_e64 s[2:3], 0, v30
	v_cndmask_b32_e32 v24, v31, v24, vcc
	v_cndmask_b32_e64 v30, v35, v33, s[2:3]
	v_cmp_ne_u32_e32 vcc, 0, v24
	v_cndmask_b32_e64 v25, v34, v32, s[2:3]
	v_cndmask_b32_e32 v24, v29, v30, vcc
	v_cndmask_b32_e32 v25, v28, v25, vcc
	v_xor_b32_e32 v28, v24, v3
	v_xor_b32_e32 v24, v25, v3
	v_sub_co_u32_e32 v24, vcc, v24, v3
	v_subb_co_u32_e32 v25, vcc, v28, v3, vcc
.LBB0_43:                               ;   in Loop: Header=BB0_40 Depth=2
	s_andn2_saveexec_b64 s[2:3], s[4:5]
	s_cbranch_execz .LBB0_45
; %bb.44:                               ;   in Loop: Header=BB0_40 Depth=2
	v_cvt_f32_u32_e32 v3, s28
	s_sub_i32 s4, 0, s28
	v_rcp_iflag_f32_e32 v3, v3
	v_mul_f32_e32 v3, 0x4f7ffffe, v3
	v_cvt_u32_f32_e32 v3, v3
	v_mul_lo_u32 v24, s4, v3
	v_mul_hi_u32 v24, v3, v24
	v_add_u32_e32 v3, v3, v24
	v_mul_hi_u32 v3, v26, v3
	v_mul_lo_u32 v24, v3, s28
	v_add_u32_e32 v25, 1, v3
	v_sub_u32_e32 v24, v26, v24
	v_subrev_u32_e32 v28, s28, v24
	v_cmp_le_u32_e32 vcc, s28, v24
	v_cndmask_b32_e32 v24, v24, v28, vcc
	v_cndmask_b32_e32 v3, v3, v25, vcc
	v_add_u32_e32 v25, 1, v3
	v_cmp_le_u32_e32 vcc, s28, v24
	v_cndmask_b32_e32 v24, v3, v25, vcc
	v_mov_b32_e32 v25, v2
.LBB0_45:                               ;   in Loop: Header=BB0_40 Depth=2
	s_or_b64 exec, exec, s[2:3]
	v_mul_lo_u32 v3, v25, s28
	v_mul_lo_u32 v30, v24, s29
	v_mad_u64_u32 v[28:29], s[2:3], v24, s28, 0
	v_add_co_u32_e32 v24, vcc, v24, v10
	v_addc_co_u32_e32 v25, vcc, v25, v11, vcc
	v_add3_u32 v3, v29, v30, v3
	v_mul_lo_u32 v29, v25, s18
	v_mul_lo_u32 v30, v24, s19
	v_mad_u64_u32 v[24:25], s[2:3], v24, s18, 0
	v_sub_co_u32_e32 v26, vcc, v26, v28
	v_subb_co_u32_e32 v27, vcc, v27, v3, vcc
	v_cmp_eq_u64_e64 s[2:3], 0, v[26:27]
	v_add3_u32 v25, v25, v30, v29
	v_mov_b32_e32 v27, v13
	v_mov_b32_e32 v29, v23
	;; [unrolled: 1-line block ×3, first 2 shown]
	s_mov_b64 s[56:57], 0
	v_mov_b32_e32 v26, v12
	v_mov_b32_e32 v28, v22
	;; [unrolled: 1-line block ×3, first 2 shown]
	s_branch .LBB0_48
.LBB0_46:                               ;   in Loop: Header=BB0_48 Depth=3
	s_or_b64 exec, exec, s[4:5]
.LBB0_47:                               ;   in Loop: Header=BB0_48 Depth=3
	s_or_b64 exec, exec, s[58:59]
	v_add_co_u32_e32 v30, vcc, 1, v30
	v_addc_co_u32_e32 v31, vcc, 0, v31, vcc
	v_add_co_u32_e32 v28, vcc, 8, v28
	v_addc_co_u32_e32 v29, vcc, 0, v29, vcc
	v_cmp_ge_i64_e32 vcc, v[30:31], v[18:19]
	v_mov_b32_e32 v3, s27
	s_or_b64 s[56:57], vcc, s[56:57]
	v_subrev_co_u32_e32 v26, vcc, s26, v26
	v_subb_co_u32_e32 v27, vcc, v27, v3, vcc
	s_andn2_b64 exec, exec, s[56:57]
	s_cbranch_execz .LBB0_38
.LBB0_48:                               ;   Parent Loop BB0_4 Depth=1
                                        ;     Parent Loop BB0_40 Depth=2
                                        ; =>    This Inner Loop Header: Depth=3
	s_and_saveexec_b64 s[58:59], s[2:3]
	s_cbranch_execz .LBB0_47
; %bb.49:                               ;   in Loop: Header=BB0_48 Depth=3
	v_or_b32_e32 v3, s31, v27
	v_cmp_ne_u64_e32 vcc, 0, v[2:3]
                                        ; implicit-def: $vgpr32_vgpr33
	s_and_saveexec_b64 s[4:5], vcc
	s_xor_b64 s[60:61], exec, s[4:5]
	s_cbranch_execz .LBB0_51
; %bb.50:                               ;   in Loop: Header=BB0_48 Depth=3
	s_ashr_i32 s62, s31, 31
	s_add_u32 s4, s30, s62
	s_mov_b32 s63, s62
	s_addc_u32 s5, s31, s62
	s_xor_b64 s[64:65], s[4:5], s[62:63]
	v_cvt_f32_u32_e32 v3, s64
	v_cvt_f32_u32_e32 v32, s65
	s_sub_u32 s63, 0, s64
	s_subb_u32 s68, 0, s65
	v_mac_f32_e32 v3, 0x4f800000, v32
	v_rcp_f32_e32 v3, v3
	v_mul_f32_e32 v3, 0x5f7ffffc, v3
	v_mul_f32_e32 v32, 0x2f800000, v3
	v_trunc_f32_e32 v32, v32
	v_mac_f32_e32 v3, 0xcf800000, v32
	v_cvt_u32_f32_e32 v32, v32
	v_cvt_u32_f32_e32 v3, v3
	v_readfirstlane_b32 s69, v32
	v_readfirstlane_b32 s4, v3
	s_mul_i32 s5, s63, s69
	s_mul_hi_u32 s71, s63, s4
	s_mul_i32 s70, s68, s4
	s_add_i32 s5, s71, s5
	s_add_i32 s5, s5, s70
	s_mul_i32 s72, s63, s4
	s_mul_i32 s71, s4, s5
	s_mul_hi_u32 s73, s4, s72
	s_mul_hi_u32 s70, s4, s5
	s_add_u32 s71, s73, s71
	s_addc_u32 s70, 0, s70
	s_mul_hi_u32 s74, s69, s72
	s_mul_i32 s72, s69, s72
	s_add_u32 s71, s71, s72
	s_mul_hi_u32 s73, s69, s5
	s_addc_u32 s70, s70, s74
	s_addc_u32 s71, s73, 0
	s_mul_i32 s5, s69, s5
	s_add_u32 s5, s70, s5
	s_addc_u32 s70, 0, s71
	s_add_u32 s71, s4, s5
	s_cselect_b64 s[4:5], -1, 0
	s_cmp_lg_u64 s[4:5], 0
	s_addc_u32 s69, s69, s70
	s_mul_i32 s4, s63, s69
	s_mul_hi_u32 s5, s63, s71
	s_add_i32 s4, s5, s4
	s_mul_i32 s68, s68, s71
	s_add_i32 s4, s4, s68
	s_mul_i32 s63, s63, s71
	s_mul_hi_u32 s68, s69, s63
	s_mul_i32 s70, s69, s63
	s_mul_i32 s73, s71, s4
	s_mul_hi_u32 s63, s71, s63
	s_mul_hi_u32 s72, s71, s4
	s_add_u32 s63, s63, s73
	s_addc_u32 s72, 0, s72
	s_add_u32 s63, s63, s70
	s_mul_hi_u32 s5, s69, s4
	s_addc_u32 s63, s72, s68
	s_addc_u32 s5, s5, 0
	s_mul_i32 s4, s69, s4
	s_add_u32 s4, s63, s4
	s_addc_u32 s63, 0, s5
	s_add_u32 s68, s71, s4
	s_cselect_b64 s[4:5], -1, 0
	v_ashrrev_i32_e32 v3, 31, v27
	s_cmp_lg_u64 s[4:5], 0
	v_add_co_u32_e32 v32, vcc, v26, v3
	s_addc_u32 s63, s69, s63
	v_xor_b32_e32 v36, v32, v3
	v_mad_u64_u32 v[32:33], s[4:5], v36, s63, 0
	v_mul_hi_u32 v35, v36, s68
	v_addc_co_u32_e32 v34, vcc, v27, v3, vcc
	v_xor_b32_e32 v37, v34, v3
	v_add_co_u32_e32 v38, vcc, v35, v32
	v_addc_co_u32_e32 v39, vcc, 0, v33, vcc
	v_mad_u64_u32 v[32:33], s[4:5], v37, s68, 0
	v_mad_u64_u32 v[34:35], s[4:5], v37, s63, 0
	v_add_co_u32_e32 v32, vcc, v38, v32
	v_addc_co_u32_e32 v32, vcc, v39, v33, vcc
	v_addc_co_u32_e32 v33, vcc, 0, v35, vcc
	v_add_co_u32_e32 v34, vcc, v32, v34
	v_addc_co_u32_e32 v35, vcc, 0, v33, vcc
	v_mul_lo_u32 v38, s65, v34
	v_mul_lo_u32 v39, s64, v35
	v_mad_u64_u32 v[32:33], s[4:5], s64, v34, 0
	v_xor_b32_e32 v3, s62, v3
	v_add3_u32 v33, v33, v39, v38
	v_sub_u32_e32 v38, v37, v33
	v_mov_b32_e32 v39, s65
	v_sub_co_u32_e32 v32, vcc, v36, v32
	v_subb_co_u32_e64 v36, s[4:5], v38, v39, vcc
	v_subrev_co_u32_e64 v38, s[4:5], s64, v32
	v_subbrev_co_u32_e64 v36, s[4:5], 0, v36, s[4:5]
	v_cmp_le_u32_e64 s[4:5], s65, v36
	v_cndmask_b32_e64 v39, 0, -1, s[4:5]
	v_cmp_le_u32_e64 s[4:5], s64, v38
	v_cndmask_b32_e64 v38, 0, -1, s[4:5]
	v_cmp_eq_u32_e64 s[4:5], s65, v36
	v_cndmask_b32_e64 v36, v39, v38, s[4:5]
	v_add_co_u32_e64 v38, s[4:5], 2, v34
	v_subb_co_u32_e32 v33, vcc, v37, v33, vcc
	v_addc_co_u32_e64 v39, s[4:5], 0, v35, s[4:5]
	v_cmp_le_u32_e32 vcc, s65, v33
	v_add_co_u32_e64 v40, s[4:5], 1, v34
	v_cndmask_b32_e64 v37, 0, -1, vcc
	v_cmp_le_u32_e32 vcc, s64, v32
	v_addc_co_u32_e64 v41, s[4:5], 0, v35, s[4:5]
	v_cndmask_b32_e64 v32, 0, -1, vcc
	v_cmp_eq_u32_e32 vcc, s65, v33
	v_cmp_ne_u32_e64 s[4:5], 0, v36
	v_cndmask_b32_e32 v32, v37, v32, vcc
	v_cndmask_b32_e64 v36, v41, v39, s[4:5]
	v_cmp_ne_u32_e32 vcc, 0, v32
	v_cndmask_b32_e64 v33, v40, v38, s[4:5]
	v_cndmask_b32_e32 v32, v35, v36, vcc
	v_cndmask_b32_e32 v33, v34, v33, vcc
	v_xor_b32_e32 v34, v32, v3
	v_xor_b32_e32 v32, v33, v3
	v_sub_co_u32_e32 v32, vcc, v32, v3
	v_subb_co_u32_e32 v33, vcc, v34, v3, vcc
.LBB0_51:                               ;   in Loop: Header=BB0_48 Depth=3
	s_andn2_saveexec_b64 s[4:5], s[60:61]
	s_cbranch_execz .LBB0_53
; %bb.52:                               ;   in Loop: Header=BB0_48 Depth=3
	v_cvt_f32_u32_e32 v3, s30
	s_sub_i32 s60, 0, s30
	v_rcp_iflag_f32_e32 v3, v3
	v_mul_f32_e32 v3, 0x4f7ffffe, v3
	v_cvt_u32_f32_e32 v3, v3
	v_mul_lo_u32 v32, s60, v3
	v_mul_hi_u32 v32, v3, v32
	v_add_u32_e32 v3, v3, v32
	v_mul_hi_u32 v3, v26, v3
	v_mul_lo_u32 v32, v3, s30
	v_add_u32_e32 v33, 1, v3
	v_sub_u32_e32 v32, v26, v32
	v_subrev_u32_e32 v34, s30, v32
	v_cmp_le_u32_e32 vcc, s30, v32
	v_cndmask_b32_e32 v32, v32, v34, vcc
	v_cndmask_b32_e32 v3, v3, v33, vcc
	v_add_u32_e32 v33, 1, v3
	v_cmp_le_u32_e32 vcc, s30, v32
	v_cndmask_b32_e32 v32, v3, v33, vcc
	v_mov_b32_e32 v33, v2
.LBB0_53:                               ;   in Loop: Header=BB0_48 Depth=3
	s_or_b64 exec, exec, s[4:5]
	v_mul_lo_u32 v3, v33, s30
	v_mul_lo_u32 v36, v32, s31
	v_mad_u64_u32 v[34:35], s[4:5], v32, s30, 0
	v_add3_u32 v3, v35, v36, v3
	v_sub_co_u32_e32 v34, vcc, v26, v34
	v_subb_co_u32_e32 v35, vcc, v27, v3, vcc
	v_cmp_eq_u64_e32 vcc, 0, v[34:35]
	s_and_saveexec_b64 s[4:5], vcc
	s_cbranch_execz .LBB0_46
; %bb.54:                               ;   in Loop: Header=BB0_48 Depth=3
	v_add_co_u32_e32 v3, vcc, v24, v32
	v_addc_co_u32_e32 v32, vcc, v25, v33, vcc
	v_mul_lo_u32 v34, v3, s37
	v_mul_lo_u32 v35, v32, s36
	v_mad_u64_u32 v[32:33], s[60:61], v3, s36, v[14:15]
	v_add3_u32 v3, v35, v33, v34
	v_mul_lo_u32 v3, s46, v3
	v_mul_lo_u32 v34, s47, v32
	v_mad_u64_u32 v[32:33], s[60:61], s46, v32, v[28:29]
	v_add3_u32 v33, v34, v33, v3
	global_load_dwordx2 v[32:33], v[32:33], off
	s_waitcnt vmcnt(0)
	v_add_f64 v[20:21], v[20:21], v[32:33]
	s_branch .LBB0_46
.LBB0_55:
	s_endpgm
	.section	.rodata,"a",@progbits
	.p2align	6, 0x0
	.amdhsa_kernel _ZN2at6native13col2im_kernelIddEEvlPKT_llllllllllllPS2_
		.amdhsa_group_segment_fixed_size 0
		.amdhsa_private_segment_fixed_size 0
		.amdhsa_kernarg_size 376
		.amdhsa_user_sgpr_count 6
		.amdhsa_user_sgpr_private_segment_buffer 1
		.amdhsa_user_sgpr_dispatch_ptr 0
		.amdhsa_user_sgpr_queue_ptr 0
		.amdhsa_user_sgpr_kernarg_segment_ptr 1
		.amdhsa_user_sgpr_dispatch_id 0
		.amdhsa_user_sgpr_flat_scratch_init 0
		.amdhsa_user_sgpr_private_segment_size 0
		.amdhsa_uses_dynamic_stack 0
		.amdhsa_system_sgpr_private_segment_wavefront_offset 0
		.amdhsa_system_sgpr_workgroup_id_x 1
		.amdhsa_system_sgpr_workgroup_id_y 0
		.amdhsa_system_sgpr_workgroup_id_z 0
		.amdhsa_system_sgpr_workgroup_info 0
		.amdhsa_system_vgpr_workitem_id 0
		.amdhsa_next_free_vgpr 42
		.amdhsa_next_free_sgpr 75
		.amdhsa_reserve_vcc 1
		.amdhsa_reserve_flat_scratch 0
		.amdhsa_float_round_mode_32 0
		.amdhsa_float_round_mode_16_64 0
		.amdhsa_float_denorm_mode_32 3
		.amdhsa_float_denorm_mode_16_64 3
		.amdhsa_dx10_clamp 1
		.amdhsa_ieee_mode 1
		.amdhsa_fp16_overflow 0
		.amdhsa_exception_fp_ieee_invalid_op 0
		.amdhsa_exception_fp_denorm_src 0
		.amdhsa_exception_fp_ieee_div_zero 0
		.amdhsa_exception_fp_ieee_overflow 0
		.amdhsa_exception_fp_ieee_underflow 0
		.amdhsa_exception_fp_ieee_inexact 0
		.amdhsa_exception_int_div_zero 0
	.end_amdhsa_kernel
	.section	.text._ZN2at6native13col2im_kernelIddEEvlPKT_llllllllllllPS2_,"axG",@progbits,_ZN2at6native13col2im_kernelIddEEvlPKT_llllllllllllPS2_,comdat
.Lfunc_end0:
	.size	_ZN2at6native13col2im_kernelIddEEvlPKT_llllllllllllPS2_, .Lfunc_end0-_ZN2at6native13col2im_kernelIddEEvlPKT_llllllllllllPS2_
                                        ; -- End function
	.set _ZN2at6native13col2im_kernelIddEEvlPKT_llllllllllllPS2_.num_vgpr, 42
	.set _ZN2at6native13col2im_kernelIddEEvlPKT_llllllllllllPS2_.num_agpr, 0
	.set _ZN2at6native13col2im_kernelIddEEvlPKT_llllllllllllPS2_.numbered_sgpr, 75
	.set _ZN2at6native13col2im_kernelIddEEvlPKT_llllllllllllPS2_.num_named_barrier, 0
	.set _ZN2at6native13col2im_kernelIddEEvlPKT_llllllllllllPS2_.private_seg_size, 0
	.set _ZN2at6native13col2im_kernelIddEEvlPKT_llllllllllllPS2_.uses_vcc, 1
	.set _ZN2at6native13col2im_kernelIddEEvlPKT_llllllllllllPS2_.uses_flat_scratch, 0
	.set _ZN2at6native13col2im_kernelIddEEvlPKT_llllllllllllPS2_.has_dyn_sized_stack, 0
	.set _ZN2at6native13col2im_kernelIddEEvlPKT_llllllllllllPS2_.has_recursion, 0
	.set _ZN2at6native13col2im_kernelIddEEvlPKT_llllllllllllPS2_.has_indirect_call, 0
	.section	.AMDGPU.csdata,"",@progbits
; Kernel info:
; codeLenInByte = 7664
; TotalNumSgprs: 79
; NumVgprs: 42
; ScratchSize: 0
; MemoryBound: 0
; FloatMode: 240
; IeeeMode: 1
; LDSByteSize: 0 bytes/workgroup (compile time only)
; SGPRBlocks: 9
; VGPRBlocks: 10
; NumSGPRsForWavesPerEU: 79
; NumVGPRsForWavesPerEU: 42
; Occupancy: 5
; WaveLimiterHint : 0
; COMPUTE_PGM_RSRC2:SCRATCH_EN: 0
; COMPUTE_PGM_RSRC2:USER_SGPR: 6
; COMPUTE_PGM_RSRC2:TRAP_HANDLER: 0
; COMPUTE_PGM_RSRC2:TGID_X_EN: 1
; COMPUTE_PGM_RSRC2:TGID_Y_EN: 0
; COMPUTE_PGM_RSRC2:TGID_Z_EN: 0
; COMPUTE_PGM_RSRC2:TIDIG_COMP_CNT: 0
	.section	.text._ZN2at6native13col2im_kernelIffEEvlPKT_llllllllllllPS2_,"axG",@progbits,_ZN2at6native13col2im_kernelIffEEvlPKT_llllllllllllPS2_,comdat
	.protected	_ZN2at6native13col2im_kernelIffEEvlPKT_llllllllllllPS2_ ; -- Begin function _ZN2at6native13col2im_kernelIffEEvlPKT_llllllllllllPS2_
	.globl	_ZN2at6native13col2im_kernelIffEEvlPKT_llllllllllllPS2_
	.p2align	8
	.type	_ZN2at6native13col2im_kernelIffEEvlPKT_llllllllllllPS2_,@function
_ZN2at6native13col2im_kernelIffEEvlPKT_llllllllllllPS2_: ; @_ZN2at6native13col2im_kernelIffEEvlPKT_llllllllllllPS2_
; %bb.0:
	s_load_dword s2, s[4:5], 0x84
	s_load_dwordx16 s[8:23], s[4:5], 0x0
	s_add_u32 s0, s4, 0x78
	v_mov_b32_e32 v2, 0
	s_addc_u32 s1, s5, 0
	s_waitcnt lgkmcnt(0)
	s_and_b32 s2, s2, 0xffff
	v_mov_b32_e32 v1, v2
	v_mov_b32_e32 v3, s6
	v_mad_u64_u32 v[0:1], s[6:7], s2, v3, v[0:1]
	v_cmp_gt_i64_e32 vcc, s[8:9], v[0:1]
	s_and_saveexec_b64 s[6:7], vcc
	s_cbranch_execz .LBB1_55
; %bb.1:
	s_load_dwordx8 s[24:31], s[4:5], 0x40
	s_load_dwordx8 s[36:43], s[4:5], 0x60
	s_load_dword s3, s[0:1], 0x0
	s_mul_i32 s0, s14, s13
	s_mul_hi_u32 s1, s14, s12
	s_add_i32 s0, s1, s0
	s_mul_i32 s1, s15, s12
	s_add_i32 s33, s0, s1
	s_add_u32 s0, s18, -1
	s_addc_u32 s1, s19, -1
	s_waitcnt lgkmcnt(0)
	s_mul_i32 s1, s30, s1
	s_mul_hi_u32 s4, s30, s0
	s_add_i32 s1, s4, s1
	s_mul_i32 s4, s31, s0
	s_add_i32 s7, s1, s4
	s_mul_i32 s6, s30, s0
	s_add_u32 s0, s16, -1
	s_addc_u32 s1, s17, -1
	s_mul_i32 s1, s28, s1
	s_mul_hi_u32 s4, s28, s0
	s_add_i32 s1, s4, s1
	s_mul_i32 s4, s29, s0
	s_add_i32 s35, s1, s4
	s_mul_i32 s34, s28, s0
	s_mul_i32 s66, s14, s12
	s_not_b64 s[42:43], s[34:35]
	s_not_b64 s[44:45], s[6:7]
	s_mul_i32 s67, s3, s2
	s_lshl_b64 s[46:47], s[38:39], 2
	s_mov_b64 s[48:49], 0
	s_branch .LBB1_4
.LBB1_2:                                ;   in Loop: Header=BB1_4 Depth=1
	s_or_b64 exec, exec, s[52:53]
.LBB1_3:                                ;   in Loop: Header=BB1_4 Depth=1
	s_or_b64 exec, exec, s[50:51]
	v_add_co_u32_e32 v0, vcc, s67, v0
	v_lshlrev_b64 v[3:4], 2, v[4:5]
	v_addc_co_u32_e32 v1, vcc, 0, v1, vcc
	v_cmp_le_i64_e32 vcc, s[8:9], v[0:1]
	v_mov_b32_e32 v5, s41
	v_add_co_u32_e64 v3, s[0:1], s40, v3
	v_addc_co_u32_e64 v4, s[0:1], v5, v4, s[0:1]
	s_or_b64 s[48:49], vcc, s[48:49]
	global_store_dword v[3:4], v32, off
	s_andn2_b64 exec, exec, s[48:49]
	s_cbranch_execz .LBB1_55
.LBB1_4:                                ; =>This Loop Header: Depth=1
                                        ;     Child Loop BB1_40 Depth 2
                                        ;       Child Loop BB1_48 Depth 3
	v_ashrrev_i32_e32 v5, 31, v0
	v_or_b32_e32 v3, s15, v5
	v_cmp_ne_u64_e32 vcc, 0, v[2:3]
	v_mov_b32_e32 v4, v0
	v_ashrrev_i32_e32 v12, 31, v5
                                        ; implicit-def: $vgpr6_vgpr7
	s_and_saveexec_b64 s[0:1], vcc
	s_xor_b64 s[2:3], exec, s[0:1]
	s_cbranch_execz .LBB1_6
; %bb.5:                                ;   in Loop: Header=BB1_4 Depth=1
	s_ashr_i32 s4, s15, 31
	s_add_u32 s0, s14, s4
	s_mov_b32 s5, s4
	s_addc_u32 s1, s15, s4
	s_xor_b64 s[50:51], s[0:1], s[4:5]
	v_cvt_f32_u32_e32 v3, s50
	v_cvt_f32_u32_e32 v6, s51
	s_sub_u32 s5, 0, s50
	s_subb_u32 s52, 0, s51
	v_mac_f32_e32 v3, 0x4f800000, v6
	v_rcp_f32_e32 v3, v3
	v_mul_f32_e32 v3, 0x5f7ffffc, v3
	v_mul_f32_e32 v6, 0x2f800000, v3
	v_trunc_f32_e32 v6, v6
	v_mac_f32_e32 v3, 0xcf800000, v6
	v_cvt_u32_f32_e32 v6, v6
	v_cvt_u32_f32_e32 v3, v3
	v_readfirstlane_b32 s53, v6
	v_readfirstlane_b32 s0, v3
	s_mul_i32 s1, s5, s53
	s_mul_hi_u32 s55, s5, s0
	s_mul_i32 s54, s52, s0
	s_add_i32 s1, s55, s1
	s_add_i32 s1, s1, s54
	s_mul_i32 s56, s5, s0
	s_mul_i32 s55, s0, s1
	s_mul_hi_u32 s57, s0, s56
	s_mul_hi_u32 s54, s0, s1
	s_add_u32 s55, s57, s55
	s_addc_u32 s54, 0, s54
	s_mul_hi_u32 s58, s53, s56
	s_mul_i32 s56, s53, s56
	s_add_u32 s55, s55, s56
	s_mul_hi_u32 s57, s53, s1
	s_addc_u32 s54, s54, s58
	s_addc_u32 s55, s57, 0
	s_mul_i32 s1, s53, s1
	s_add_u32 s1, s54, s1
	s_addc_u32 s54, 0, s55
	s_add_u32 s55, s0, s1
	s_cselect_b64 s[0:1], -1, 0
	s_cmp_lg_u64 s[0:1], 0
	s_addc_u32 s53, s53, s54
	s_mul_i32 s0, s5, s53
	s_mul_hi_u32 s1, s5, s55
	s_add_i32 s0, s1, s0
	s_mul_i32 s52, s52, s55
	s_add_i32 s0, s0, s52
	s_mul_i32 s5, s5, s55
	s_mul_hi_u32 s52, s53, s5
	s_mul_i32 s54, s53, s5
	s_mul_i32 s57, s55, s0
	s_mul_hi_u32 s5, s55, s5
	s_mul_hi_u32 s56, s55, s0
	s_add_u32 s5, s5, s57
	s_addc_u32 s56, 0, s56
	s_add_u32 s5, s5, s54
	s_mul_hi_u32 s1, s53, s0
	s_addc_u32 s5, s56, s52
	s_addc_u32 s1, s1, 0
	s_mul_i32 s0, s53, s0
	s_add_u32 s0, s5, s0
	s_addc_u32 s5, 0, s1
	s_add_u32 s52, s55, s0
	s_cselect_b64 s[0:1], -1, 0
	s_cmp_lg_u64 s[0:1], 0
	v_add_co_u32_e32 v3, vcc, v4, v12
	s_addc_u32 s5, s53, s5
	v_xor_b32_e32 v3, v3, v12
	v_mad_u64_u32 v[6:7], s[0:1], v3, s5, 0
	v_mul_hi_u32 v9, v3, s52
	v_addc_co_u32_e32 v8, vcc, v5, v12, vcc
	v_xor_b32_e32 v10, v8, v12
	v_add_co_u32_e32 v11, vcc, v9, v6
	v_addc_co_u32_e32 v13, vcc, 0, v7, vcc
	v_mad_u64_u32 v[6:7], s[0:1], v10, s52, 0
	v_mad_u64_u32 v[8:9], s[0:1], v10, s5, 0
	v_add_co_u32_e32 v6, vcc, v11, v6
	v_addc_co_u32_e32 v6, vcc, v13, v7, vcc
	v_addc_co_u32_e32 v7, vcc, 0, v9, vcc
	v_add_co_u32_e32 v8, vcc, v6, v8
	v_addc_co_u32_e32 v9, vcc, 0, v7, vcc
	v_mul_lo_u32 v11, s51, v8
	v_mul_lo_u32 v13, s50, v9
	v_mad_u64_u32 v[6:7], s[0:1], s50, v8, 0
	v_add3_u32 v7, v7, v13, v11
	v_sub_u32_e32 v11, v10, v7
	v_mov_b32_e32 v13, s51
	v_sub_co_u32_e32 v3, vcc, v3, v6
	v_subb_co_u32_e64 v6, s[0:1], v11, v13, vcc
	v_subrev_co_u32_e64 v11, s[0:1], s50, v3
	v_subbrev_co_u32_e64 v6, s[0:1], 0, v6, s[0:1]
	v_cmp_le_u32_e64 s[0:1], s51, v6
	v_cndmask_b32_e64 v13, 0, -1, s[0:1]
	v_cmp_le_u32_e64 s[0:1], s50, v11
	v_cndmask_b32_e64 v11, 0, -1, s[0:1]
	v_cmp_eq_u32_e64 s[0:1], s51, v6
	v_cndmask_b32_e64 v6, v13, v11, s[0:1]
	v_add_co_u32_e64 v11, s[0:1], 2, v8
	v_subb_co_u32_e32 v7, vcc, v10, v7, vcc
	v_addc_co_u32_e64 v13, s[0:1], 0, v9, s[0:1]
	v_cmp_le_u32_e32 vcc, s51, v7
	v_add_co_u32_e64 v14, s[0:1], 1, v8
	v_cndmask_b32_e64 v10, 0, -1, vcc
	v_cmp_le_u32_e32 vcc, s50, v3
	v_addc_co_u32_e64 v15, s[0:1], 0, v9, s[0:1]
	v_cndmask_b32_e64 v3, 0, -1, vcc
	v_cmp_eq_u32_e32 vcc, s51, v7
	v_cmp_ne_u32_e64 s[0:1], 0, v6
	v_cndmask_b32_e32 v3, v10, v3, vcc
	v_cndmask_b32_e64 v6, v15, v13, s[0:1]
	v_cmp_ne_u32_e32 vcc, 0, v3
	v_cndmask_b32_e32 v3, v9, v6, vcc
	v_cndmask_b32_e64 v6, v14, v11, s[0:1]
	v_cndmask_b32_e32 v6, v8, v6, vcc
	v_xor_b32_e32 v7, s4, v12
	v_xor_b32_e32 v6, v6, v7
	;; [unrolled: 1-line block ×3, first 2 shown]
	v_sub_co_u32_e32 v6, vcc, v6, v7
	v_subb_co_u32_e32 v7, vcc, v3, v7, vcc
.LBB1_6:                                ;   in Loop: Header=BB1_4 Depth=1
	s_andn2_saveexec_b64 s[0:1], s[2:3]
	s_cbranch_execz .LBB1_8
; %bb.7:                                ;   in Loop: Header=BB1_4 Depth=1
	v_cvt_f32_u32_e32 v3, s14
	s_sub_i32 s2, 0, s14
	v_rcp_iflag_f32_e32 v3, v3
	v_mul_f32_e32 v3, 0x4f7ffffe, v3
	v_cvt_u32_f32_e32 v3, v3
	v_mul_lo_u32 v6, s2, v3
	v_mul_hi_u32 v6, v3, v6
	v_add_u32_e32 v3, v3, v6
	v_mul_hi_u32 v3, v4, v3
	v_mul_lo_u32 v6, v3, s14
	v_add_u32_e32 v7, 1, v3
	v_sub_u32_e32 v6, v4, v6
	v_subrev_u32_e32 v8, s14, v6
	v_cmp_le_u32_e32 vcc, s14, v6
	v_cndmask_b32_e32 v6, v6, v8, vcc
	v_cndmask_b32_e32 v3, v3, v7, vcc
	v_add_u32_e32 v7, 1, v3
	v_cmp_le_u32_e32 vcc, s14, v6
	v_cndmask_b32_e32 v6, v3, v7, vcc
	v_mov_b32_e32 v7, v2
.LBB1_8:                                ;   in Loop: Header=BB1_4 Depth=1
	s_or_b64 exec, exec, s[0:1]
	v_or_b32_e32 v3, s13, v7
	v_cmp_ne_u64_e32 vcc, 0, v[2:3]
                                        ; implicit-def: $vgpr8_vgpr9
	s_and_saveexec_b64 s[0:1], vcc
	s_xor_b64 s[4:5], exec, s[0:1]
	s_cbranch_execz .LBB1_10
; %bb.9:                                ;   in Loop: Header=BB1_4 Depth=1
	s_ashr_i32 s0, s13, 31
	s_add_u32 s2, s12, s0
	s_mov_b32 s1, s0
	s_addc_u32 s3, s13, s0
	s_xor_b64 s[50:51], s[2:3], s[0:1]
	v_cvt_f32_u32_e32 v3, s50
	v_cvt_f32_u32_e32 v8, s51
	s_sub_u32 s2, 0, s50
	s_subb_u32 s3, 0, s51
	v_mac_f32_e32 v3, 0x4f800000, v8
	v_rcp_f32_e32 v3, v3
	v_mul_f32_e32 v3, 0x5f7ffffc, v3
	v_mul_f32_e32 v8, 0x2f800000, v3
	v_trunc_f32_e32 v8, v8
	v_mac_f32_e32 v3, 0xcf800000, v8
	v_cvt_u32_f32_e32 v8, v8
	v_cvt_u32_f32_e32 v3, v3
	v_readfirstlane_b32 s52, v8
	v_readfirstlane_b32 s0, v3
	s_mul_i32 s1, s2, s52
	s_mul_hi_u32 s54, s2, s0
	s_mul_i32 s53, s3, s0
	s_add_i32 s1, s54, s1
	s_add_i32 s1, s1, s53
	s_mul_i32 s55, s2, s0
	s_mul_i32 s54, s0, s1
	s_mul_hi_u32 s56, s0, s55
	s_mul_hi_u32 s53, s0, s1
	s_add_u32 s54, s56, s54
	s_addc_u32 s53, 0, s53
	s_mul_hi_u32 s57, s52, s55
	s_mul_i32 s55, s52, s55
	s_add_u32 s54, s54, s55
	s_mul_hi_u32 s56, s52, s1
	s_addc_u32 s53, s53, s57
	s_addc_u32 s54, s56, 0
	s_mul_i32 s1, s52, s1
	s_add_u32 s1, s53, s1
	s_addc_u32 s53, 0, s54
	s_add_u32 s54, s0, s1
	s_cselect_b64 s[0:1], -1, 0
	s_cmp_lg_u64 s[0:1], 0
	s_addc_u32 s52, s52, s53
	s_mul_i32 s0, s2, s52
	s_mul_hi_u32 s1, s2, s54
	s_add_i32 s0, s1, s0
	s_mul_i32 s3, s3, s54
	s_add_i32 s0, s0, s3
	s_mul_i32 s2, s2, s54
	s_mul_hi_u32 s3, s52, s2
	s_mul_i32 s53, s52, s2
	s_mul_i32 s56, s54, s0
	s_mul_hi_u32 s2, s54, s2
	s_mul_hi_u32 s55, s54, s0
	s_add_u32 s2, s2, s56
	s_addc_u32 s55, 0, s55
	s_add_u32 s2, s2, s53
	s_mul_hi_u32 s1, s52, s0
	s_addc_u32 s2, s55, s3
	s_addc_u32 s1, s1, 0
	s_mul_i32 s0, s52, s0
	s_add_u32 s0, s2, s0
	s_addc_u32 s2, 0, s1
	s_add_u32 s3, s54, s0
	s_cselect_b64 s[0:1], -1, 0
	v_ashrrev_i32_e32 v3, 31, v7
	s_cmp_lg_u64 s[0:1], 0
	v_add_co_u32_e32 v8, vcc, v6, v3
	s_addc_u32 s2, s52, s2
	v_xor_b32_e32 v13, v8, v3
	v_mad_u64_u32 v[8:9], s[0:1], v13, s2, 0
	v_mul_hi_u32 v11, v13, s3
	v_addc_co_u32_e32 v10, vcc, v7, v3, vcc
	v_xor_b32_e32 v14, v10, v3
	v_add_co_u32_e32 v15, vcc, v11, v8
	v_addc_co_u32_e32 v16, vcc, 0, v9, vcc
	v_mad_u64_u32 v[8:9], s[0:1], v14, s3, 0
	v_mad_u64_u32 v[10:11], s[0:1], v14, s2, 0
	v_add_co_u32_e32 v8, vcc, v15, v8
	v_addc_co_u32_e32 v8, vcc, v16, v9, vcc
	v_addc_co_u32_e32 v9, vcc, 0, v11, vcc
	v_add_co_u32_e32 v8, vcc, v8, v10
	v_addc_co_u32_e32 v9, vcc, 0, v9, vcc
	v_mul_lo_u32 v10, s51, v8
	v_mul_lo_u32 v11, s50, v9
	v_mad_u64_u32 v[8:9], s[0:1], s50, v8, 0
	v_add3_u32 v9, v9, v11, v10
	v_sub_u32_e32 v10, v14, v9
	v_mov_b32_e32 v11, s51
	v_sub_co_u32_e32 v8, vcc, v13, v8
	v_subb_co_u32_e64 v10, s[0:1], v10, v11, vcc
	v_subrev_co_u32_e64 v13, s[0:1], s50, v8
	v_subbrev_co_u32_e64 v15, s[2:3], 0, v10, s[0:1]
	v_cmp_le_u32_e64 s[2:3], s51, v15
	v_cndmask_b32_e64 v16, 0, -1, s[2:3]
	v_cmp_le_u32_e64 s[2:3], s50, v13
	v_subb_co_u32_e64 v10, s[0:1], v10, v11, s[0:1]
	v_cndmask_b32_e64 v17, 0, -1, s[2:3]
	v_cmp_eq_u32_e64 s[2:3], s51, v15
	v_subrev_co_u32_e64 v11, s[0:1], s50, v13
	v_subb_co_u32_e32 v9, vcc, v14, v9, vcc
	v_cndmask_b32_e64 v16, v16, v17, s[2:3]
	v_subbrev_co_u32_e64 v10, s[0:1], 0, v10, s[0:1]
	v_cmp_le_u32_e32 vcc, s51, v9
	v_cmp_ne_u32_e64 s[0:1], 0, v16
	v_cndmask_b32_e64 v14, 0, -1, vcc
	v_cmp_le_u32_e32 vcc, s50, v8
	v_cndmask_b32_e64 v10, v15, v10, s[0:1]
	v_cndmask_b32_e64 v15, 0, -1, vcc
	v_cmp_eq_u32_e32 vcc, s51, v9
	v_cndmask_b32_e32 v14, v14, v15, vcc
	v_cmp_ne_u32_e32 vcc, 0, v14
	v_cndmask_b32_e32 v9, v9, v10, vcc
	v_cndmask_b32_e64 v10, v13, v11, s[0:1]
	v_cndmask_b32_e32 v8, v8, v10, vcc
	v_xor_b32_e32 v8, v8, v3
	v_xor_b32_e32 v9, v9, v3
	v_sub_co_u32_e32 v8, vcc, v8, v3
	v_subb_co_u32_e32 v9, vcc, v9, v3, vcc
.LBB1_10:                               ;   in Loop: Header=BB1_4 Depth=1
	s_andn2_saveexec_b64 s[0:1], s[4:5]
	s_cbranch_execz .LBB1_12
; %bb.11:                               ;   in Loop: Header=BB1_4 Depth=1
	v_cvt_f32_u32_e32 v3, s12
	s_sub_i32 s2, 0, s12
	v_mov_b32_e32 v9, v2
	v_rcp_iflag_f32_e32 v3, v3
	v_mul_f32_e32 v3, 0x4f7ffffe, v3
	v_cvt_u32_f32_e32 v3, v3
	v_mul_lo_u32 v8, s2, v3
	v_mul_hi_u32 v8, v3, v8
	v_add_u32_e32 v3, v3, v8
	v_mul_hi_u32 v3, v6, v3
	v_mul_lo_u32 v3, v3, s12
	v_sub_u32_e32 v3, v6, v3
	v_subrev_u32_e32 v8, s12, v3
	v_cmp_le_u32_e32 vcc, s12, v3
	v_cndmask_b32_e32 v3, v3, v8, vcc
	v_subrev_u32_e32 v8, s12, v3
	v_cmp_le_u32_e32 vcc, s12, v3
	v_cndmask_b32_e32 v8, v3, v8, vcc
.LBB1_12:                               ;   in Loop: Header=BB1_4 Depth=1
	s_or_b64 exec, exec, s[0:1]
	v_or_b32_e32 v3, s33, v5
	v_cmp_ne_u64_e32 vcc, 0, v[2:3]
                                        ; implicit-def: $vgpr10_vgpr11
	s_and_saveexec_b64 s[0:1], vcc
	s_xor_b64 s[2:3], exec, s[0:1]
	s_cbranch_execz .LBB1_14
; %bb.13:                               ;   in Loop: Header=BB1_4 Depth=1
	s_ashr_i32 s4, s33, 31
	s_add_u32 s0, s66, s4
	s_mov_b32 s5, s4
	s_addc_u32 s1, s33, s4
	s_xor_b64 s[50:51], s[0:1], s[4:5]
	v_cvt_f32_u32_e32 v3, s50
	v_cvt_f32_u32_e32 v10, s51
	s_sub_u32 s5, 0, s50
	s_subb_u32 s52, 0, s51
	v_mac_f32_e32 v3, 0x4f800000, v10
	v_rcp_f32_e32 v3, v3
	v_mul_f32_e32 v3, 0x5f7ffffc, v3
	v_mul_f32_e32 v10, 0x2f800000, v3
	v_trunc_f32_e32 v10, v10
	v_mac_f32_e32 v3, 0xcf800000, v10
	v_cvt_u32_f32_e32 v10, v10
	v_cvt_u32_f32_e32 v3, v3
	v_readfirstlane_b32 s53, v10
	v_readfirstlane_b32 s0, v3
	s_mul_i32 s1, s5, s53
	s_mul_hi_u32 s55, s5, s0
	s_mul_i32 s54, s52, s0
	s_add_i32 s1, s55, s1
	s_add_i32 s1, s1, s54
	s_mul_i32 s56, s5, s0
	s_mul_i32 s55, s0, s1
	s_mul_hi_u32 s57, s0, s56
	s_mul_hi_u32 s54, s0, s1
	s_add_u32 s55, s57, s55
	s_addc_u32 s54, 0, s54
	s_mul_hi_u32 s58, s53, s56
	s_mul_i32 s56, s53, s56
	s_add_u32 s55, s55, s56
	s_mul_hi_u32 s57, s53, s1
	s_addc_u32 s54, s54, s58
	s_addc_u32 s55, s57, 0
	s_mul_i32 s1, s53, s1
	s_add_u32 s1, s54, s1
	s_addc_u32 s54, 0, s55
	s_add_u32 s55, s0, s1
	s_cselect_b64 s[0:1], -1, 0
	s_cmp_lg_u64 s[0:1], 0
	s_addc_u32 s53, s53, s54
	s_mul_i32 s0, s5, s53
	s_mul_hi_u32 s1, s5, s55
	s_add_i32 s0, s1, s0
	s_mul_i32 s52, s52, s55
	s_add_i32 s0, s0, s52
	s_mul_i32 s5, s5, s55
	s_mul_hi_u32 s52, s53, s5
	s_mul_i32 s54, s53, s5
	s_mul_i32 s57, s55, s0
	s_mul_hi_u32 s5, s55, s5
	s_mul_hi_u32 s56, s55, s0
	s_add_u32 s5, s5, s57
	s_addc_u32 s56, 0, s56
	s_add_u32 s5, s5, s54
	s_mul_hi_u32 s1, s53, s0
	s_addc_u32 s5, s56, s52
	s_addc_u32 s1, s1, 0
	s_mul_i32 s0, s53, s0
	s_add_u32 s0, s5, s0
	s_addc_u32 s5, 0, s1
	s_add_u32 s52, s55, s0
	s_cselect_b64 s[0:1], -1, 0
	s_cmp_lg_u64 s[0:1], 0
	v_add_co_u32_e32 v3, vcc, v4, v12
	s_addc_u32 s5, s53, s5
	v_xor_b32_e32 v3, v3, v12
	v_mad_u64_u32 v[10:11], s[0:1], v3, s5, 0
	v_mul_hi_u32 v14, v3, s52
	v_addc_co_u32_e32 v13, vcc, v5, v12, vcc
	v_xor_b32_e32 v15, v13, v12
	v_add_co_u32_e32 v16, vcc, v14, v10
	v_addc_co_u32_e32 v17, vcc, 0, v11, vcc
	v_mad_u64_u32 v[10:11], s[0:1], v15, s52, 0
	v_mad_u64_u32 v[13:14], s[0:1], v15, s5, 0
	v_add_co_u32_e32 v10, vcc, v16, v10
	v_addc_co_u32_e32 v10, vcc, v17, v11, vcc
	v_addc_co_u32_e32 v11, vcc, 0, v14, vcc
	v_add_co_u32_e32 v13, vcc, v10, v13
	v_addc_co_u32_e32 v14, vcc, 0, v11, vcc
	v_mul_lo_u32 v16, s51, v13
	v_mul_lo_u32 v17, s50, v14
	v_mad_u64_u32 v[10:11], s[0:1], s50, v13, 0
	v_add3_u32 v11, v11, v17, v16
	v_sub_u32_e32 v16, v15, v11
	v_mov_b32_e32 v17, s51
	v_sub_co_u32_e32 v3, vcc, v3, v10
	v_subb_co_u32_e64 v10, s[0:1], v16, v17, vcc
	v_subrev_co_u32_e64 v16, s[0:1], s50, v3
	v_subbrev_co_u32_e64 v10, s[0:1], 0, v10, s[0:1]
	v_cmp_le_u32_e64 s[0:1], s51, v10
	v_cndmask_b32_e64 v17, 0, -1, s[0:1]
	v_cmp_le_u32_e64 s[0:1], s50, v16
	v_cndmask_b32_e64 v16, 0, -1, s[0:1]
	v_cmp_eq_u32_e64 s[0:1], s51, v10
	v_cndmask_b32_e64 v10, v17, v16, s[0:1]
	v_add_co_u32_e64 v16, s[0:1], 2, v13
	v_subb_co_u32_e32 v11, vcc, v15, v11, vcc
	v_addc_co_u32_e64 v17, s[0:1], 0, v14, s[0:1]
	v_cmp_le_u32_e32 vcc, s51, v11
	v_add_co_u32_e64 v18, s[0:1], 1, v13
	v_cndmask_b32_e64 v15, 0, -1, vcc
	v_cmp_le_u32_e32 vcc, s50, v3
	v_addc_co_u32_e64 v19, s[0:1], 0, v14, s[0:1]
	v_cndmask_b32_e64 v3, 0, -1, vcc
	v_cmp_eq_u32_e32 vcc, s51, v11
	v_cmp_ne_u32_e64 s[0:1], 0, v10
	v_cndmask_b32_e32 v3, v15, v3, vcc
	v_cndmask_b32_e64 v10, v19, v17, s[0:1]
	v_cmp_ne_u32_e32 vcc, 0, v3
	v_cndmask_b32_e32 v3, v14, v10, vcc
	v_cndmask_b32_e64 v10, v18, v16, s[0:1]
	v_cndmask_b32_e32 v10, v13, v10, vcc
	v_xor_b32_e32 v11, s4, v12
	v_xor_b32_e32 v10, v10, v11
	;; [unrolled: 1-line block ×3, first 2 shown]
	v_sub_co_u32_e32 v10, vcc, v10, v11
	v_subb_co_u32_e32 v11, vcc, v3, v11, vcc
.LBB1_14:                               ;   in Loop: Header=BB1_4 Depth=1
	s_andn2_saveexec_b64 s[0:1], s[2:3]
	s_cbranch_execz .LBB1_16
; %bb.15:                               ;   in Loop: Header=BB1_4 Depth=1
	v_cvt_f32_u32_e32 v3, s66
	s_sub_i32 s2, 0, s66
	v_rcp_iflag_f32_e32 v3, v3
	v_mul_f32_e32 v3, 0x4f7ffffe, v3
	v_cvt_u32_f32_e32 v3, v3
	v_mul_lo_u32 v10, s2, v3
	v_mul_hi_u32 v10, v3, v10
	v_add_u32_e32 v3, v3, v10
	v_mul_hi_u32 v3, v0, v3
	v_mul_lo_u32 v10, v3, s66
	v_add_u32_e32 v11, 1, v3
	v_sub_u32_e32 v10, v0, v10
	v_subrev_u32_e32 v12, s66, v10
	v_cmp_le_u32_e32 vcc, s66, v10
	v_cndmask_b32_e32 v10, v10, v12, vcc
	v_cndmask_b32_e32 v3, v3, v11, vcc
	v_add_u32_e32 v11, 1, v3
	v_cmp_le_u32_e32 vcc, s66, v10
	v_cndmask_b32_e32 v10, v3, v11, vcc
	v_mov_b32_e32 v11, v2
.LBB1_16:                               ;   in Loop: Header=BB1_4 Depth=1
	s_or_b64 exec, exec, s[0:1]
	v_mul_lo_u32 v3, v7, s14
	v_mul_lo_u32 v7, v6, s15
	v_mad_u64_u32 v[12:13], s[0:1], v6, s14, 0
	v_add3_u32 v13, v13, v7, v3
	v_sub_co_u32_e32 v3, vcc, v4, v12
	v_subb_co_u32_e32 v6, vcc, v5, v13, vcc
	v_mov_b32_e32 v7, s23
	v_add_co_u32_e32 v14, vcc, s22, v3
	v_addc_co_u32_e32 v15, vcc, v6, v7, vcc
	v_cmp_lt_i64_e32 vcc, s[6:7], v[14:15]
	v_mov_b32_e32 v6, 0
	v_mov_b32_e32 v7, 0
	s_and_saveexec_b64 s[2:3], vcc
	s_cbranch_execz .LBB1_22
; %bb.17:                               ;   in Loop: Header=BB1_4 Depth=1
	v_mov_b32_e32 v3, s45
	v_add_co_u32_e32 v16, vcc, s44, v14
	v_addc_co_u32_e32 v17, vcc, v15, v3, vcc
	v_or_b32_e32 v3, s27, v17
	v_cmp_ne_u64_e32 vcc, 0, v[2:3]
                                        ; implicit-def: $vgpr6_vgpr7
	s_and_saveexec_b64 s[0:1], vcc
	s_xor_b64 s[4:5], exec, s[0:1]
	s_cbranch_execz .LBB1_19
; %bb.18:                               ;   in Loop: Header=BB1_4 Depth=1
	s_ashr_i32 s50, s27, 31
	s_add_u32 s0, s26, s50
	s_mov_b32 s51, s50
	s_addc_u32 s1, s27, s50
	s_xor_b64 s[52:53], s[0:1], s[50:51]
	v_cvt_f32_u32_e32 v3, s52
	v_cvt_f32_u32_e32 v6, s53
	s_sub_u32 s51, 0, s52
	s_subb_u32 s54, 0, s53
	v_mac_f32_e32 v3, 0x4f800000, v6
	v_rcp_f32_e32 v3, v3
	v_mul_f32_e32 v3, 0x5f7ffffc, v3
	v_mul_f32_e32 v6, 0x2f800000, v3
	v_trunc_f32_e32 v6, v6
	v_mac_f32_e32 v3, 0xcf800000, v6
	v_cvt_u32_f32_e32 v6, v6
	v_cvt_u32_f32_e32 v3, v3
	v_readfirstlane_b32 s55, v6
	v_readfirstlane_b32 s0, v3
	s_mul_i32 s1, s51, s55
	s_mul_hi_u32 s57, s51, s0
	s_mul_i32 s56, s54, s0
	s_add_i32 s1, s57, s1
	s_add_i32 s1, s1, s56
	s_mul_i32 s58, s51, s0
	s_mul_i32 s57, s0, s1
	s_mul_hi_u32 s59, s0, s58
	s_mul_hi_u32 s56, s0, s1
	s_add_u32 s57, s59, s57
	s_addc_u32 s56, 0, s56
	s_mul_hi_u32 s60, s55, s58
	s_mul_i32 s58, s55, s58
	s_add_u32 s57, s57, s58
	s_mul_hi_u32 s59, s55, s1
	s_addc_u32 s56, s56, s60
	s_addc_u32 s57, s59, 0
	s_mul_i32 s1, s55, s1
	s_add_u32 s1, s56, s1
	s_addc_u32 s56, 0, s57
	s_add_u32 s57, s0, s1
	s_cselect_b64 s[0:1], -1, 0
	s_cmp_lg_u64 s[0:1], 0
	s_addc_u32 s55, s55, s56
	s_mul_i32 s0, s51, s55
	s_mul_hi_u32 s1, s51, s57
	s_add_i32 s0, s1, s0
	s_mul_i32 s54, s54, s57
	s_add_i32 s0, s0, s54
	s_mul_i32 s51, s51, s57
	s_mul_hi_u32 s54, s55, s51
	s_mul_i32 s56, s55, s51
	s_mul_i32 s59, s57, s0
	s_mul_hi_u32 s51, s57, s51
	s_mul_hi_u32 s58, s57, s0
	s_add_u32 s51, s51, s59
	s_addc_u32 s58, 0, s58
	s_add_u32 s51, s51, s56
	s_mul_hi_u32 s1, s55, s0
	s_addc_u32 s51, s58, s54
	s_addc_u32 s1, s1, 0
	s_mul_i32 s0, s55, s0
	s_add_u32 s0, s51, s0
	s_addc_u32 s51, 0, s1
	s_add_u32 s54, s57, s0
	s_cselect_b64 s[0:1], -1, 0
	v_ashrrev_i32_e32 v3, 31, v17
	s_cmp_lg_u64 s[0:1], 0
	v_add_co_u32_e32 v6, vcc, v16, v3
	s_addc_u32 s51, s55, s51
	v_xor_b32_e32 v18, v6, v3
	v_addc_co_u32_e32 v16, vcc, v17, v3, vcc
	v_mad_u64_u32 v[6:7], s[0:1], v18, s51, 0
	v_mul_hi_u32 v17, v18, s54
	v_xor_b32_e32 v19, v16, v3
	v_xor_b32_e32 v3, s50, v3
	v_add_co_u32_e32 v20, vcc, v17, v6
	v_addc_co_u32_e32 v21, vcc, 0, v7, vcc
	v_mad_u64_u32 v[6:7], s[0:1], v19, s54, 0
	v_mad_u64_u32 v[16:17], s[0:1], v19, s51, 0
	v_add_co_u32_e32 v6, vcc, v20, v6
	v_addc_co_u32_e32 v6, vcc, v21, v7, vcc
	v_addc_co_u32_e32 v7, vcc, 0, v17, vcc
	v_add_co_u32_e32 v16, vcc, v6, v16
	v_addc_co_u32_e32 v17, vcc, 0, v7, vcc
	v_mul_lo_u32 v20, s53, v16
	v_mul_lo_u32 v21, s52, v17
	v_mad_u64_u32 v[6:7], s[0:1], s52, v16, 0
	v_add3_u32 v7, v7, v21, v20
	v_sub_u32_e32 v20, v19, v7
	v_mov_b32_e32 v21, s53
	v_sub_co_u32_e32 v6, vcc, v18, v6
	v_subb_co_u32_e64 v18, s[0:1], v20, v21, vcc
	v_subrev_co_u32_e64 v20, s[0:1], s52, v6
	v_subbrev_co_u32_e64 v18, s[0:1], 0, v18, s[0:1]
	v_cmp_le_u32_e64 s[0:1], s53, v18
	v_cndmask_b32_e64 v21, 0, -1, s[0:1]
	v_cmp_le_u32_e64 s[0:1], s52, v20
	v_cndmask_b32_e64 v20, 0, -1, s[0:1]
	v_cmp_eq_u32_e64 s[0:1], s53, v18
	v_cndmask_b32_e64 v18, v21, v20, s[0:1]
	v_add_co_u32_e64 v20, s[0:1], 2, v16
	v_subb_co_u32_e32 v7, vcc, v19, v7, vcc
	v_addc_co_u32_e64 v21, s[0:1], 0, v17, s[0:1]
	v_cmp_le_u32_e32 vcc, s53, v7
	v_add_co_u32_e64 v22, s[0:1], 1, v16
	v_cndmask_b32_e64 v19, 0, -1, vcc
	v_cmp_le_u32_e32 vcc, s52, v6
	v_addc_co_u32_e64 v23, s[0:1], 0, v17, s[0:1]
	v_cndmask_b32_e64 v6, 0, -1, vcc
	v_cmp_eq_u32_e32 vcc, s53, v7
	v_cmp_ne_u32_e64 s[0:1], 0, v18
	v_cndmask_b32_e32 v6, v19, v6, vcc
	v_cndmask_b32_e64 v18, v23, v21, s[0:1]
	v_cmp_ne_u32_e32 vcc, 0, v6
	v_cndmask_b32_e64 v7, v22, v20, s[0:1]
	v_cndmask_b32_e32 v6, v17, v18, vcc
	v_cndmask_b32_e32 v7, v16, v7, vcc
	v_xor_b32_e32 v16, v6, v3
	v_xor_b32_e32 v6, v7, v3
	v_sub_co_u32_e32 v6, vcc, v6, v3
	v_subb_co_u32_e32 v7, vcc, v16, v3, vcc
                                        ; implicit-def: $vgpr16
.LBB1_19:                               ;   in Loop: Header=BB1_4 Depth=1
	s_andn2_saveexec_b64 s[0:1], s[4:5]
	s_cbranch_execz .LBB1_21
; %bb.20:                               ;   in Loop: Header=BB1_4 Depth=1
	v_cvt_f32_u32_e32 v3, s26
	s_sub_i32 s4, 0, s26
	v_rcp_iflag_f32_e32 v3, v3
	v_mul_f32_e32 v3, 0x4f7ffffe, v3
	v_cvt_u32_f32_e32 v3, v3
	v_mul_lo_u32 v6, s4, v3
	v_mul_hi_u32 v6, v3, v6
	v_add_u32_e32 v3, v3, v6
	v_mul_hi_u32 v3, v16, v3
	v_mul_lo_u32 v6, v3, s26
	v_add_u32_e32 v7, 1, v3
	v_sub_u32_e32 v6, v16, v6
	v_subrev_u32_e32 v16, s26, v6
	v_cmp_le_u32_e32 vcc, s26, v6
	v_cndmask_b32_e32 v6, v6, v16, vcc
	v_cndmask_b32_e32 v3, v3, v7, vcc
	v_add_u32_e32 v7, 1, v3
	v_cmp_le_u32_e32 vcc, s26, v6
	v_cndmask_b32_e32 v6, v3, v7, vcc
	v_mov_b32_e32 v7, v2
.LBB1_21:                               ;   in Loop: Header=BB1_4 Depth=1
	s_or_b64 exec, exec, s[0:1]
	v_add_co_u32_e32 v6, vcc, 1, v6
	v_addc_co_u32_e32 v7, vcc, 0, v7, vcc
.LBB1_22:                               ;   in Loop: Header=BB1_4 Depth=1
	s_or_b64 exec, exec, s[2:3]
	v_or_b32_e32 v3, s27, v15
	v_cmp_ne_u64_e32 vcc, 0, v[2:3]
                                        ; implicit-def: $vgpr18_vgpr19
	s_and_saveexec_b64 s[0:1], vcc
	s_xor_b64 s[2:3], exec, s[0:1]
	s_cbranch_execz .LBB1_24
; %bb.23:                               ;   in Loop: Header=BB1_4 Depth=1
	s_ashr_i32 s4, s27, 31
	s_add_u32 s0, s26, s4
	s_mov_b32 s5, s4
	s_addc_u32 s1, s27, s4
	s_xor_b64 s[50:51], s[0:1], s[4:5]
	v_cvt_f32_u32_e32 v3, s50
	v_cvt_f32_u32_e32 v16, s51
	s_sub_u32 s5, 0, s50
	s_subb_u32 s52, 0, s51
	v_mac_f32_e32 v3, 0x4f800000, v16
	v_rcp_f32_e32 v3, v3
	v_mul_f32_e32 v3, 0x5f7ffffc, v3
	v_mul_f32_e32 v16, 0x2f800000, v3
	v_trunc_f32_e32 v16, v16
	v_mac_f32_e32 v3, 0xcf800000, v16
	v_cvt_u32_f32_e32 v16, v16
	v_cvt_u32_f32_e32 v3, v3
	v_readfirstlane_b32 s53, v16
	v_readfirstlane_b32 s0, v3
	s_mul_i32 s1, s5, s53
	s_mul_hi_u32 s55, s5, s0
	s_mul_i32 s54, s52, s0
	s_add_i32 s1, s55, s1
	s_add_i32 s1, s1, s54
	s_mul_i32 s56, s5, s0
	s_mul_i32 s55, s0, s1
	s_mul_hi_u32 s57, s0, s56
	s_mul_hi_u32 s54, s0, s1
	s_add_u32 s55, s57, s55
	s_addc_u32 s54, 0, s54
	s_mul_hi_u32 s58, s53, s56
	s_mul_i32 s56, s53, s56
	s_add_u32 s55, s55, s56
	s_mul_hi_u32 s57, s53, s1
	s_addc_u32 s54, s54, s58
	s_addc_u32 s55, s57, 0
	s_mul_i32 s1, s53, s1
	s_add_u32 s1, s54, s1
	s_addc_u32 s54, 0, s55
	s_add_u32 s55, s0, s1
	s_cselect_b64 s[0:1], -1, 0
	s_cmp_lg_u64 s[0:1], 0
	s_addc_u32 s53, s53, s54
	s_mul_i32 s0, s5, s53
	s_mul_hi_u32 s1, s5, s55
	s_add_i32 s0, s1, s0
	s_mul_i32 s52, s52, s55
	s_add_i32 s0, s0, s52
	s_mul_i32 s5, s5, s55
	s_mul_hi_u32 s52, s53, s5
	s_mul_i32 s54, s53, s5
	s_mul_i32 s57, s55, s0
	s_mul_hi_u32 s5, s55, s5
	s_mul_hi_u32 s56, s55, s0
	s_add_u32 s5, s5, s57
	s_addc_u32 s56, 0, s56
	s_add_u32 s5, s5, s54
	s_mul_hi_u32 s1, s53, s0
	s_addc_u32 s5, s56, s52
	s_addc_u32 s1, s1, 0
	s_mul_i32 s0, s53, s0
	s_add_u32 s0, s5, s0
	s_addc_u32 s5, 0, s1
	s_add_u32 s52, s55, s0
	s_cselect_b64 s[0:1], -1, 0
	v_ashrrev_i32_e32 v3, 31, v15
	s_cmp_lg_u64 s[0:1], 0
	v_add_co_u32_e32 v14, vcc, v14, v3
	s_addc_u32 s5, s53, s5
	v_xor_b32_e32 v18, v14, v3
	v_addc_co_u32_e32 v16, vcc, v15, v3, vcc
	v_mad_u64_u32 v[14:15], s[0:1], v18, s5, 0
	v_mul_hi_u32 v17, v18, s52
	v_xor_b32_e32 v19, v16, v3
	v_xor_b32_e32 v3, s4, v3
	v_add_co_u32_e32 v20, vcc, v17, v14
	v_addc_co_u32_e32 v21, vcc, 0, v15, vcc
	v_mad_u64_u32 v[14:15], s[0:1], v19, s52, 0
	v_mad_u64_u32 v[16:17], s[0:1], v19, s5, 0
	v_add_co_u32_e32 v14, vcc, v20, v14
	v_addc_co_u32_e32 v14, vcc, v21, v15, vcc
	v_addc_co_u32_e32 v15, vcc, 0, v17, vcc
	v_add_co_u32_e32 v16, vcc, v14, v16
	v_addc_co_u32_e32 v17, vcc, 0, v15, vcc
	v_mul_lo_u32 v20, s51, v16
	v_mul_lo_u32 v21, s50, v17
	v_mad_u64_u32 v[14:15], s[0:1], s50, v16, 0
	v_add3_u32 v15, v15, v21, v20
	v_sub_u32_e32 v20, v19, v15
	v_mov_b32_e32 v21, s51
	v_sub_co_u32_e32 v14, vcc, v18, v14
	v_subb_co_u32_e64 v18, s[0:1], v20, v21, vcc
	v_subrev_co_u32_e64 v20, s[0:1], s50, v14
	v_subbrev_co_u32_e64 v18, s[0:1], 0, v18, s[0:1]
	v_cmp_le_u32_e64 s[0:1], s51, v18
	v_cndmask_b32_e64 v21, 0, -1, s[0:1]
	v_cmp_le_u32_e64 s[0:1], s50, v20
	v_cndmask_b32_e64 v20, 0, -1, s[0:1]
	v_cmp_eq_u32_e64 s[0:1], s51, v18
	v_cndmask_b32_e64 v18, v21, v20, s[0:1]
	v_add_co_u32_e64 v20, s[0:1], 2, v16
	v_subb_co_u32_e32 v15, vcc, v19, v15, vcc
	v_addc_co_u32_e64 v21, s[0:1], 0, v17, s[0:1]
	v_cmp_le_u32_e32 vcc, s51, v15
	v_add_co_u32_e64 v22, s[0:1], 1, v16
	v_cndmask_b32_e64 v19, 0, -1, vcc
	v_cmp_le_u32_e32 vcc, s50, v14
	v_addc_co_u32_e64 v23, s[0:1], 0, v17, s[0:1]
	v_cndmask_b32_e64 v14, 0, -1, vcc
	v_cmp_eq_u32_e32 vcc, s51, v15
	v_cmp_ne_u32_e64 s[0:1], 0, v18
	v_cndmask_b32_e32 v14, v19, v14, vcc
	v_cmp_ne_u32_e32 vcc, 0, v14
	v_cndmask_b32_e64 v15, v22, v20, s[0:1]
	v_cndmask_b32_e64 v18, v23, v21, s[0:1]
	v_cndmask_b32_e32 v15, v16, v15, vcc
	v_cndmask_b32_e32 v14, v17, v18, vcc
	v_xor_b32_e32 v15, v15, v3
	v_xor_b32_e32 v14, v14, v3
	v_sub_co_u32_e32 v18, vcc, v15, v3
	v_subb_co_u32_e32 v19, vcc, v14, v3, vcc
                                        ; implicit-def: $vgpr14
.LBB1_24:                               ;   in Loop: Header=BB1_4 Depth=1
	s_andn2_saveexec_b64 s[0:1], s[2:3]
	s_cbranch_execz .LBB1_26
; %bb.25:                               ;   in Loop: Header=BB1_4 Depth=1
	v_cvt_f32_u32_e32 v3, s26
	s_sub_i32 s2, 0, s26
	v_mov_b32_e32 v19, v2
	v_rcp_iflag_f32_e32 v3, v3
	v_mul_f32_e32 v3, 0x4f7ffffe, v3
	v_cvt_u32_f32_e32 v3, v3
	v_mul_lo_u32 v15, s2, v3
	v_mul_hi_u32 v15, v3, v15
	v_add_u32_e32 v3, v3, v15
	v_mul_hi_u32 v3, v14, v3
	v_mul_lo_u32 v15, v3, s26
	v_add_u32_e32 v16, 1, v3
	v_sub_u32_e32 v14, v14, v15
	v_subrev_u32_e32 v15, s26, v14
	v_cmp_le_u32_e32 vcc, s26, v14
	v_cndmask_b32_e32 v14, v14, v15, vcc
	v_cndmask_b32_e32 v3, v3, v16, vcc
	v_add_u32_e32 v15, 1, v3
	v_cmp_le_u32_e32 vcc, s26, v14
	v_cndmask_b32_e32 v18, v3, v15, vcc
.LBB1_26:                               ;   in Loop: Header=BB1_4 Depth=1
	s_or_b64 exec, exec, s[0:1]
	v_mov_b32_e32 v3, s21
	v_add_co_u32_e32 v8, vcc, s20, v8
	v_addc_co_u32_e32 v9, vcc, v9, v3, vcc
	v_cmp_lt_i64_e32 vcc, s[34:35], v[8:9]
	v_mov_b32_e32 v14, 0
	v_mov_b32_e32 v15, 0
	s_and_saveexec_b64 s[2:3], vcc
	s_cbranch_execz .LBB1_32
; %bb.27:                               ;   in Loop: Header=BB1_4 Depth=1
	v_mov_b32_e32 v3, s43
	v_add_co_u32_e32 v16, vcc, s42, v8
	v_addc_co_u32_e32 v17, vcc, v9, v3, vcc
	v_or_b32_e32 v3, s25, v17
	v_cmp_ne_u64_e32 vcc, 0, v[2:3]
                                        ; implicit-def: $vgpr14_vgpr15
	s_and_saveexec_b64 s[0:1], vcc
	s_xor_b64 s[4:5], exec, s[0:1]
	s_cbranch_execz .LBB1_29
; %bb.28:                               ;   in Loop: Header=BB1_4 Depth=1
	s_ashr_i32 s50, s25, 31
	s_add_u32 s0, s24, s50
	s_mov_b32 s51, s50
	s_addc_u32 s1, s25, s50
	s_xor_b64 s[52:53], s[0:1], s[50:51]
	v_cvt_f32_u32_e32 v3, s52
	v_cvt_f32_u32_e32 v14, s53
	s_sub_u32 s51, 0, s52
	s_subb_u32 s54, 0, s53
	v_mac_f32_e32 v3, 0x4f800000, v14
	v_rcp_f32_e32 v3, v3
	v_mul_f32_e32 v3, 0x5f7ffffc, v3
	v_mul_f32_e32 v14, 0x2f800000, v3
	v_trunc_f32_e32 v14, v14
	v_mac_f32_e32 v3, 0xcf800000, v14
	v_cvt_u32_f32_e32 v14, v14
	v_cvt_u32_f32_e32 v3, v3
	v_readfirstlane_b32 s55, v14
	v_readfirstlane_b32 s0, v3
	s_mul_i32 s1, s51, s55
	s_mul_hi_u32 s57, s51, s0
	s_mul_i32 s56, s54, s0
	s_add_i32 s1, s57, s1
	s_add_i32 s1, s1, s56
	s_mul_i32 s58, s51, s0
	s_mul_i32 s57, s0, s1
	s_mul_hi_u32 s59, s0, s58
	s_mul_hi_u32 s56, s0, s1
	s_add_u32 s57, s59, s57
	s_addc_u32 s56, 0, s56
	s_mul_hi_u32 s60, s55, s58
	s_mul_i32 s58, s55, s58
	s_add_u32 s57, s57, s58
	s_mul_hi_u32 s59, s55, s1
	s_addc_u32 s56, s56, s60
	s_addc_u32 s57, s59, 0
	s_mul_i32 s1, s55, s1
	s_add_u32 s1, s56, s1
	s_addc_u32 s56, 0, s57
	s_add_u32 s57, s0, s1
	s_cselect_b64 s[0:1], -1, 0
	s_cmp_lg_u64 s[0:1], 0
	s_addc_u32 s55, s55, s56
	s_mul_i32 s0, s51, s55
	s_mul_hi_u32 s1, s51, s57
	s_add_i32 s0, s1, s0
	s_mul_i32 s54, s54, s57
	s_add_i32 s0, s0, s54
	s_mul_i32 s51, s51, s57
	s_mul_hi_u32 s54, s55, s51
	s_mul_i32 s56, s55, s51
	s_mul_i32 s59, s57, s0
	s_mul_hi_u32 s51, s57, s51
	s_mul_hi_u32 s58, s57, s0
	s_add_u32 s51, s51, s59
	s_addc_u32 s58, 0, s58
	s_add_u32 s51, s51, s56
	s_mul_hi_u32 s1, s55, s0
	s_addc_u32 s51, s58, s54
	s_addc_u32 s1, s1, 0
	s_mul_i32 s0, s55, s0
	s_add_u32 s0, s51, s0
	s_addc_u32 s51, 0, s1
	s_add_u32 s54, s57, s0
	s_cselect_b64 s[0:1], -1, 0
	v_ashrrev_i32_e32 v3, 31, v17
	s_cmp_lg_u64 s[0:1], 0
	v_add_co_u32_e32 v14, vcc, v16, v3
	s_addc_u32 s51, s55, s51
	v_xor_b32_e32 v20, v14, v3
	v_addc_co_u32_e32 v16, vcc, v17, v3, vcc
	v_mad_u64_u32 v[14:15], s[0:1], v20, s51, 0
	v_mul_hi_u32 v17, v20, s54
	v_xor_b32_e32 v21, v16, v3
	v_xor_b32_e32 v3, s50, v3
	v_add_co_u32_e32 v22, vcc, v17, v14
	v_addc_co_u32_e32 v23, vcc, 0, v15, vcc
	v_mad_u64_u32 v[14:15], s[0:1], v21, s54, 0
	v_mad_u64_u32 v[16:17], s[0:1], v21, s51, 0
	v_add_co_u32_e32 v14, vcc, v22, v14
	v_addc_co_u32_e32 v14, vcc, v23, v15, vcc
	v_addc_co_u32_e32 v15, vcc, 0, v17, vcc
	v_add_co_u32_e32 v16, vcc, v14, v16
	v_addc_co_u32_e32 v17, vcc, 0, v15, vcc
	v_mul_lo_u32 v22, s53, v16
	v_mul_lo_u32 v23, s52, v17
	v_mad_u64_u32 v[14:15], s[0:1], s52, v16, 0
	v_add3_u32 v15, v15, v23, v22
	v_sub_u32_e32 v22, v21, v15
	v_mov_b32_e32 v23, s53
	v_sub_co_u32_e32 v14, vcc, v20, v14
	v_subb_co_u32_e64 v20, s[0:1], v22, v23, vcc
	v_subrev_co_u32_e64 v22, s[0:1], s52, v14
	v_subbrev_co_u32_e64 v20, s[0:1], 0, v20, s[0:1]
	v_cmp_le_u32_e64 s[0:1], s53, v20
	v_cndmask_b32_e64 v23, 0, -1, s[0:1]
	v_cmp_le_u32_e64 s[0:1], s52, v22
	v_cndmask_b32_e64 v22, 0, -1, s[0:1]
	v_cmp_eq_u32_e64 s[0:1], s53, v20
	v_cndmask_b32_e64 v20, v23, v22, s[0:1]
	v_add_co_u32_e64 v22, s[0:1], 2, v16
	v_subb_co_u32_e32 v15, vcc, v21, v15, vcc
	v_addc_co_u32_e64 v23, s[0:1], 0, v17, s[0:1]
	v_cmp_le_u32_e32 vcc, s53, v15
	v_add_co_u32_e64 v24, s[0:1], 1, v16
	v_cndmask_b32_e64 v21, 0, -1, vcc
	v_cmp_le_u32_e32 vcc, s52, v14
	v_addc_co_u32_e64 v25, s[0:1], 0, v17, s[0:1]
	v_cndmask_b32_e64 v14, 0, -1, vcc
	v_cmp_eq_u32_e32 vcc, s53, v15
	v_cmp_ne_u32_e64 s[0:1], 0, v20
	v_cndmask_b32_e32 v14, v21, v14, vcc
	v_cndmask_b32_e64 v20, v25, v23, s[0:1]
	v_cmp_ne_u32_e32 vcc, 0, v14
	v_cndmask_b32_e64 v15, v24, v22, s[0:1]
	v_cndmask_b32_e32 v14, v17, v20, vcc
	v_cndmask_b32_e32 v15, v16, v15, vcc
	v_xor_b32_e32 v16, v14, v3
	v_xor_b32_e32 v14, v15, v3
	v_sub_co_u32_e32 v14, vcc, v14, v3
	v_subb_co_u32_e32 v15, vcc, v16, v3, vcc
                                        ; implicit-def: $vgpr16
.LBB1_29:                               ;   in Loop: Header=BB1_4 Depth=1
	s_andn2_saveexec_b64 s[0:1], s[4:5]
	s_cbranch_execz .LBB1_31
; %bb.30:                               ;   in Loop: Header=BB1_4 Depth=1
	v_cvt_f32_u32_e32 v3, s24
	s_sub_i32 s4, 0, s24
	v_rcp_iflag_f32_e32 v3, v3
	v_mul_f32_e32 v3, 0x4f7ffffe, v3
	v_cvt_u32_f32_e32 v3, v3
	v_mul_lo_u32 v14, s4, v3
	v_mul_hi_u32 v14, v3, v14
	v_add_u32_e32 v3, v3, v14
	v_mul_hi_u32 v3, v16, v3
	v_mul_lo_u32 v14, v3, s24
	v_add_u32_e32 v15, 1, v3
	v_sub_u32_e32 v14, v16, v14
	v_subrev_u32_e32 v16, s24, v14
	v_cmp_le_u32_e32 vcc, s24, v14
	v_cndmask_b32_e32 v14, v14, v16, vcc
	v_cndmask_b32_e32 v3, v3, v15, vcc
	v_add_u32_e32 v15, 1, v3
	v_cmp_le_u32_e32 vcc, s24, v14
	v_cndmask_b32_e32 v14, v3, v15, vcc
	v_mov_b32_e32 v15, v2
.LBB1_31:                               ;   in Loop: Header=BB1_4 Depth=1
	s_or_b64 exec, exec, s[0:1]
	v_add_co_u32_e32 v14, vcc, 1, v14
	v_addc_co_u32_e32 v15, vcc, 0, v15, vcc
.LBB1_32:                               ;   in Loop: Header=BB1_4 Depth=1
	s_or_b64 exec, exec, s[2:3]
	v_or_b32_e32 v3, s25, v9
	v_cmp_ne_u64_e32 vcc, 0, v[2:3]
                                        ; implicit-def: $vgpr16_vgpr17
	s_and_saveexec_b64 s[0:1], vcc
	s_xor_b64 s[2:3], exec, s[0:1]
	s_cbranch_execz .LBB1_34
; %bb.33:                               ;   in Loop: Header=BB1_4 Depth=1
	s_ashr_i32 s4, s25, 31
	s_add_u32 s0, s24, s4
	s_mov_b32 s5, s4
	s_addc_u32 s1, s25, s4
	s_xor_b64 s[50:51], s[0:1], s[4:5]
	v_cvt_f32_u32_e32 v3, s50
	v_cvt_f32_u32_e32 v16, s51
	s_sub_u32 s5, 0, s50
	s_subb_u32 s52, 0, s51
	v_mac_f32_e32 v3, 0x4f800000, v16
	v_rcp_f32_e32 v3, v3
	v_mul_f32_e32 v3, 0x5f7ffffc, v3
	v_mul_f32_e32 v16, 0x2f800000, v3
	v_trunc_f32_e32 v16, v16
	v_mac_f32_e32 v3, 0xcf800000, v16
	v_cvt_u32_f32_e32 v16, v16
	v_cvt_u32_f32_e32 v3, v3
	v_readfirstlane_b32 s53, v16
	v_readfirstlane_b32 s0, v3
	s_mul_i32 s1, s5, s53
	s_mul_hi_u32 s55, s5, s0
	s_mul_i32 s54, s52, s0
	s_add_i32 s1, s55, s1
	s_add_i32 s1, s1, s54
	s_mul_i32 s56, s5, s0
	s_mul_i32 s55, s0, s1
	s_mul_hi_u32 s57, s0, s56
	s_mul_hi_u32 s54, s0, s1
	s_add_u32 s55, s57, s55
	s_addc_u32 s54, 0, s54
	s_mul_hi_u32 s58, s53, s56
	s_mul_i32 s56, s53, s56
	s_add_u32 s55, s55, s56
	s_mul_hi_u32 s57, s53, s1
	s_addc_u32 s54, s54, s58
	s_addc_u32 s55, s57, 0
	s_mul_i32 s1, s53, s1
	s_add_u32 s1, s54, s1
	s_addc_u32 s54, 0, s55
	s_add_u32 s55, s0, s1
	s_cselect_b64 s[0:1], -1, 0
	s_cmp_lg_u64 s[0:1], 0
	s_addc_u32 s53, s53, s54
	s_mul_i32 s0, s5, s53
	s_mul_hi_u32 s1, s5, s55
	s_add_i32 s0, s1, s0
	s_mul_i32 s52, s52, s55
	s_add_i32 s0, s0, s52
	s_mul_i32 s5, s5, s55
	s_mul_hi_u32 s52, s53, s5
	s_mul_i32 s54, s53, s5
	s_mul_i32 s57, s55, s0
	s_mul_hi_u32 s5, s55, s5
	s_mul_hi_u32 s56, s55, s0
	s_add_u32 s5, s5, s57
	s_addc_u32 s56, 0, s56
	s_add_u32 s5, s5, s54
	s_mul_hi_u32 s1, s53, s0
	s_addc_u32 s5, s56, s52
	s_addc_u32 s1, s1, 0
	s_mul_i32 s0, s53, s0
	s_add_u32 s0, s5, s0
	s_addc_u32 s5, 0, s1
	s_add_u32 s52, s55, s0
	s_cselect_b64 s[0:1], -1, 0
	v_ashrrev_i32_e32 v3, 31, v9
	s_cmp_lg_u64 s[0:1], 0
	v_add_co_u32_e32 v16, vcc, v8, v3
	s_addc_u32 s5, s53, s5
	v_xor_b32_e32 v22, v16, v3
	v_mad_u64_u32 v[16:17], s[0:1], v22, s5, 0
	v_mul_hi_u32 v21, v22, s52
	v_addc_co_u32_e32 v20, vcc, v9, v3, vcc
	v_xor_b32_e32 v23, v20, v3
	v_add_co_u32_e32 v24, vcc, v21, v16
	v_addc_co_u32_e32 v25, vcc, 0, v17, vcc
	v_mad_u64_u32 v[16:17], s[0:1], v23, s52, 0
	v_mad_u64_u32 v[20:21], s[0:1], v23, s5, 0
	v_add_co_u32_e32 v16, vcc, v24, v16
	v_addc_co_u32_e32 v16, vcc, v25, v17, vcc
	v_addc_co_u32_e32 v17, vcc, 0, v21, vcc
	v_add_co_u32_e32 v20, vcc, v16, v20
	v_addc_co_u32_e32 v21, vcc, 0, v17, vcc
	v_mul_lo_u32 v24, s51, v20
	v_mul_lo_u32 v25, s50, v21
	v_mad_u64_u32 v[16:17], s[0:1], s50, v20, 0
	v_xor_b32_e32 v3, s4, v3
	v_add3_u32 v17, v17, v25, v24
	v_sub_u32_e32 v24, v23, v17
	v_mov_b32_e32 v25, s51
	v_sub_co_u32_e32 v16, vcc, v22, v16
	v_subb_co_u32_e64 v22, s[0:1], v24, v25, vcc
	v_subrev_co_u32_e64 v24, s[0:1], s50, v16
	v_subbrev_co_u32_e64 v22, s[0:1], 0, v22, s[0:1]
	v_cmp_le_u32_e64 s[0:1], s51, v22
	v_cndmask_b32_e64 v25, 0, -1, s[0:1]
	v_cmp_le_u32_e64 s[0:1], s50, v24
	v_cndmask_b32_e64 v24, 0, -1, s[0:1]
	v_cmp_eq_u32_e64 s[0:1], s51, v22
	v_cndmask_b32_e64 v22, v25, v24, s[0:1]
	v_add_co_u32_e64 v24, s[0:1], 2, v20
	v_subb_co_u32_e32 v17, vcc, v23, v17, vcc
	v_addc_co_u32_e64 v25, s[0:1], 0, v21, s[0:1]
	v_cmp_le_u32_e32 vcc, s51, v17
	v_add_co_u32_e64 v26, s[0:1], 1, v20
	v_cndmask_b32_e64 v23, 0, -1, vcc
	v_cmp_le_u32_e32 vcc, s50, v16
	v_addc_co_u32_e64 v27, s[0:1], 0, v21, s[0:1]
	v_cndmask_b32_e64 v16, 0, -1, vcc
	v_cmp_eq_u32_e32 vcc, s51, v17
	v_cmp_ne_u32_e64 s[0:1], 0, v22
	v_cndmask_b32_e32 v16, v23, v16, vcc
	v_cndmask_b32_e64 v22, v27, v25, s[0:1]
	v_cmp_ne_u32_e32 vcc, 0, v16
	v_cndmask_b32_e64 v17, v26, v24, s[0:1]
	v_cndmask_b32_e32 v16, v21, v22, vcc
	v_cndmask_b32_e32 v17, v20, v17, vcc
	v_xor_b32_e32 v20, v16, v3
	v_xor_b32_e32 v16, v17, v3
	v_sub_co_u32_e32 v16, vcc, v16, v3
	v_subb_co_u32_e32 v17, vcc, v20, v3, vcc
.LBB1_34:                               ;   in Loop: Header=BB1_4 Depth=1
	s_andn2_saveexec_b64 s[0:1], s[2:3]
	s_cbranch_execz .LBB1_36
; %bb.35:                               ;   in Loop: Header=BB1_4 Depth=1
	v_cvt_f32_u32_e32 v3, s24
	s_sub_i32 s2, 0, s24
	v_rcp_iflag_f32_e32 v3, v3
	v_mul_f32_e32 v3, 0x4f7ffffe, v3
	v_cvt_u32_f32_e32 v3, v3
	v_mul_lo_u32 v16, s2, v3
	v_mul_hi_u32 v16, v3, v16
	v_add_u32_e32 v3, v3, v16
	v_mul_hi_u32 v3, v8, v3
	v_mul_lo_u32 v16, v3, s24
	v_add_u32_e32 v17, 1, v3
	v_sub_u32_e32 v16, v8, v16
	v_subrev_u32_e32 v20, s24, v16
	v_cmp_le_u32_e32 vcc, s24, v16
	v_cndmask_b32_e32 v16, v16, v20, vcc
	v_cndmask_b32_e32 v3, v3, v17, vcc
	v_add_u32_e32 v17, 1, v3
	v_cmp_le_u32_e32 vcc, s24, v16
	v_cndmask_b32_e32 v16, v3, v17, vcc
	v_mov_b32_e32 v17, v2
.LBB1_36:                               ;   in Loop: Header=BB1_4 Depth=1
	s_or_b64 exec, exec, s[0:1]
	v_add_co_u32_e32 v16, vcc, 1, v16
	v_addc_co_u32_e32 v17, vcc, 0, v17, vcc
	v_cmp_gt_i64_e32 vcc, s[36:37], v[16:17]
	v_mov_b32_e32 v3, s37
	v_cndmask_b32_e32 v17, v3, v17, vcc
	v_mov_b32_e32 v3, s36
	v_cndmask_b32_e32 v16, v3, v16, vcc
	v_cmp_lt_i64_e32 vcc, v[14:15], v[16:17]
	v_mov_b32_e32 v32, 0
	s_and_saveexec_b64 s[50:51], vcc
	s_cbranch_execz .LBB1_3
; %bb.37:                               ;   in Loop: Header=BB1_4 Depth=1
	v_add_co_u32_e32 v18, vcc, 1, v18
	v_addc_co_u32_e32 v19, vcc, 0, v19, vcc
	v_cmp_gt_i64_e32 vcc, s[38:39], v[18:19]
	v_mov_b32_e32 v3, s39
	v_cndmask_b32_e32 v19, v3, v19, vcc
	v_mul_lo_u32 v3, v11, s16
	v_mul_lo_u32 v20, v10, s17
	v_mad_u64_u32 v[10:11], s[0:1], v10, s16, 0
	v_mov_b32_e32 v21, s38
	v_cndmask_b32_e32 v18, v21, v18, vcc
	v_add3_u32 v11, v11, v20, v3
	v_lshlrev_b64 v[20:21], 2, v[6:7]
	v_mov_b32_e32 v3, s11
	v_add_co_u32_e32 v20, vcc, s10, v20
	v_mul_lo_u32 v24, s27, v6
	v_mul_lo_u32 v25, s26, v7
	v_mad_u64_u32 v[22:23], s[2:3], s26, v6, 0
	v_addc_co_u32_e32 v21, vcc, v3, v21, vcc
	v_mov_b32_e32 v3, s23
	v_add_co_u32_e32 v26, vcc, s22, v4
	v_addc_co_u32_e32 v3, vcc, v3, v5, vcc
	v_add3_u32 v23, v23, v25, v24
	v_sub_co_u32_e32 v22, vcc, v26, v22
	v_subb_co_u32_e32 v3, vcc, v3, v23, vcc
	v_cmp_lt_i64_e64 s[0:1], v[6:7], v[18:19]
	v_sub_co_u32_e32 v12, vcc, v22, v12
	v_subb_co_u32_e32 v13, vcc, v3, v13, vcc
	v_mov_b32_e32 v32, 0
	s_mov_b64 s[52:53], 0
	s_branch .LBB1_40
.LBB1_38:                               ;   in Loop: Header=BB1_40 Depth=2
	s_or_b64 exec, exec, s[56:57]
.LBB1_39:                               ;   in Loop: Header=BB1_40 Depth=2
	s_or_b64 exec, exec, s[54:55]
	v_add_co_u32_e32 v14, vcc, 1, v14
	v_addc_co_u32_e32 v15, vcc, 0, v15, vcc
	v_cmp_ge_i64_e32 vcc, v[14:15], v[16:17]
	s_or_b64 s[52:53], vcc, s[52:53]
	s_andn2_b64 exec, exec, s[52:53]
	s_cbranch_execz .LBB1_2
.LBB1_40:                               ;   Parent Loop BB1_4 Depth=1
                                        ; =>  This Loop Header: Depth=2
                                        ;       Child Loop BB1_48 Depth 3
	s_and_saveexec_b64 s[54:55], s[0:1]
	s_cbranch_execz .LBB1_39
; %bb.41:                               ;   in Loop: Header=BB1_40 Depth=2
	v_mul_lo_u32 v3, v15, s24
	v_mul_lo_u32 v24, v14, s25
	v_mad_u64_u32 v[22:23], s[2:3], v14, s24, 0
	v_add3_u32 v3, v23, v24, v3
	v_sub_co_u32_e32 v24, vcc, v8, v22
	v_subb_co_u32_e32 v25, vcc, v9, v3, vcc
	v_or_b32_e32 v3, s29, v25
	v_cmp_ne_u64_e32 vcc, 0, v[2:3]
                                        ; implicit-def: $vgpr22_vgpr23
	s_and_saveexec_b64 s[2:3], vcc
	s_xor_b64 s[4:5], exec, s[2:3]
	s_cbranch_execz .LBB1_43
; %bb.42:                               ;   in Loop: Header=BB1_40 Depth=2
	s_ashr_i32 s56, s29, 31
	s_add_u32 s2, s28, s56
	s_mov_b32 s57, s56
	s_addc_u32 s3, s29, s56
	s_xor_b64 s[58:59], s[2:3], s[56:57]
	v_cvt_f32_u32_e32 v3, s58
	v_cvt_f32_u32_e32 v22, s59
	s_sub_u32 s57, 0, s58
	s_subb_u32 s60, 0, s59
	v_mac_f32_e32 v3, 0x4f800000, v22
	v_rcp_f32_e32 v3, v3
	v_mul_f32_e32 v3, 0x5f7ffffc, v3
	v_mul_f32_e32 v22, 0x2f800000, v3
	v_trunc_f32_e32 v22, v22
	v_mac_f32_e32 v3, 0xcf800000, v22
	v_cvt_u32_f32_e32 v22, v22
	v_cvt_u32_f32_e32 v3, v3
	v_readfirstlane_b32 s61, v22
	v_readfirstlane_b32 s2, v3
	s_mul_i32 s3, s57, s61
	s_mul_hi_u32 s63, s57, s2
	s_mul_i32 s62, s60, s2
	s_add_i32 s3, s63, s3
	s_add_i32 s3, s3, s62
	s_mul_i32 s64, s57, s2
	s_mul_i32 s63, s2, s3
	s_mul_hi_u32 s65, s2, s64
	s_mul_hi_u32 s62, s2, s3
	s_add_u32 s63, s65, s63
	s_addc_u32 s62, 0, s62
	s_mul_hi_u32 s68, s61, s64
	s_mul_i32 s64, s61, s64
	s_add_u32 s63, s63, s64
	s_mul_hi_u32 s65, s61, s3
	s_addc_u32 s62, s62, s68
	s_addc_u32 s63, s65, 0
	s_mul_i32 s3, s61, s3
	s_add_u32 s3, s62, s3
	s_addc_u32 s62, 0, s63
	s_add_u32 s63, s2, s3
	s_cselect_b64 s[2:3], -1, 0
	s_cmp_lg_u64 s[2:3], 0
	s_addc_u32 s61, s61, s62
	s_mul_i32 s2, s57, s61
	s_mul_hi_u32 s3, s57, s63
	s_add_i32 s2, s3, s2
	s_mul_i32 s60, s60, s63
	s_add_i32 s2, s2, s60
	s_mul_i32 s57, s57, s63
	s_mul_hi_u32 s60, s61, s57
	s_mul_i32 s62, s61, s57
	s_mul_i32 s65, s63, s2
	s_mul_hi_u32 s57, s63, s57
	s_mul_hi_u32 s64, s63, s2
	s_add_u32 s57, s57, s65
	s_addc_u32 s64, 0, s64
	s_add_u32 s57, s57, s62
	s_mul_hi_u32 s3, s61, s2
	s_addc_u32 s57, s64, s60
	s_addc_u32 s3, s3, 0
	s_mul_i32 s2, s61, s2
	s_add_u32 s2, s57, s2
	s_addc_u32 s57, 0, s3
	s_add_u32 s60, s63, s2
	s_cselect_b64 s[2:3], -1, 0
	v_ashrrev_i32_e32 v3, 31, v25
	s_cmp_lg_u64 s[2:3], 0
	v_add_co_u32_e32 v22, vcc, v24, v3
	s_addc_u32 s57, s61, s57
	v_xor_b32_e32 v28, v22, v3
	v_mad_u64_u32 v[22:23], s[2:3], v28, s57, 0
	v_mul_hi_u32 v27, v28, s60
	v_addc_co_u32_e32 v26, vcc, v25, v3, vcc
	v_xor_b32_e32 v29, v26, v3
	v_add_co_u32_e32 v30, vcc, v27, v22
	v_addc_co_u32_e32 v31, vcc, 0, v23, vcc
	v_mad_u64_u32 v[22:23], s[2:3], v29, s60, 0
	v_mad_u64_u32 v[26:27], s[2:3], v29, s57, 0
	v_add_co_u32_e32 v22, vcc, v30, v22
	v_addc_co_u32_e32 v22, vcc, v31, v23, vcc
	v_addc_co_u32_e32 v23, vcc, 0, v27, vcc
	v_add_co_u32_e32 v26, vcc, v22, v26
	v_addc_co_u32_e32 v27, vcc, 0, v23, vcc
	v_mul_lo_u32 v30, s59, v26
	v_mul_lo_u32 v31, s58, v27
	v_mad_u64_u32 v[22:23], s[2:3], s58, v26, 0
	v_xor_b32_e32 v3, s56, v3
	v_add3_u32 v23, v23, v31, v30
	v_sub_u32_e32 v30, v29, v23
	v_mov_b32_e32 v31, s59
	v_sub_co_u32_e32 v22, vcc, v28, v22
	v_subb_co_u32_e64 v28, s[2:3], v30, v31, vcc
	v_subrev_co_u32_e64 v30, s[2:3], s58, v22
	v_subbrev_co_u32_e64 v28, s[2:3], 0, v28, s[2:3]
	v_cmp_le_u32_e64 s[2:3], s59, v28
	v_cndmask_b32_e64 v31, 0, -1, s[2:3]
	v_cmp_le_u32_e64 s[2:3], s58, v30
	v_cndmask_b32_e64 v30, 0, -1, s[2:3]
	v_cmp_eq_u32_e64 s[2:3], s59, v28
	v_cndmask_b32_e64 v28, v31, v30, s[2:3]
	v_add_co_u32_e64 v30, s[2:3], 2, v26
	v_subb_co_u32_e32 v23, vcc, v29, v23, vcc
	v_addc_co_u32_e64 v31, s[2:3], 0, v27, s[2:3]
	v_cmp_le_u32_e32 vcc, s59, v23
	v_add_co_u32_e64 v33, s[2:3], 1, v26
	v_cndmask_b32_e64 v29, 0, -1, vcc
	v_cmp_le_u32_e32 vcc, s58, v22
	v_addc_co_u32_e64 v34, s[2:3], 0, v27, s[2:3]
	v_cndmask_b32_e64 v22, 0, -1, vcc
	v_cmp_eq_u32_e32 vcc, s59, v23
	v_cmp_ne_u32_e64 s[2:3], 0, v28
	v_cndmask_b32_e32 v22, v29, v22, vcc
	v_cndmask_b32_e64 v28, v34, v31, s[2:3]
	v_cmp_ne_u32_e32 vcc, 0, v22
	v_cndmask_b32_e64 v23, v33, v30, s[2:3]
	v_cndmask_b32_e32 v22, v27, v28, vcc
	v_cndmask_b32_e32 v23, v26, v23, vcc
	v_xor_b32_e32 v26, v22, v3
	v_xor_b32_e32 v22, v23, v3
	v_sub_co_u32_e32 v22, vcc, v22, v3
	v_subb_co_u32_e32 v23, vcc, v26, v3, vcc
.LBB1_43:                               ;   in Loop: Header=BB1_40 Depth=2
	s_andn2_saveexec_b64 s[4:5], s[4:5]
	s_cbranch_execz .LBB1_45
; %bb.44:                               ;   in Loop: Header=BB1_40 Depth=2
	v_cvt_f32_u32_e32 v3, s28
	s_sub_i32 s2, 0, s28
	v_rcp_iflag_f32_e32 v3, v3
	v_mul_f32_e32 v3, 0x4f7ffffe, v3
	v_cvt_u32_f32_e32 v3, v3
	v_mul_lo_u32 v22, s2, v3
	v_mul_hi_u32 v22, v3, v22
	v_add_u32_e32 v3, v3, v22
	v_mul_hi_u32 v3, v24, v3
	v_mul_lo_u32 v22, v3, s28
	v_sub_u32_e32 v22, v24, v22
	v_cmp_le_u32_e32 vcc, s28, v22
	v_subrev_u32_e32 v23, s28, v22
	v_cndmask_b32_e32 v22, v22, v23, vcc
	v_cmp_le_u32_e64 s[2:3], s28, v22
	v_add_u32_e32 v22, 1, v3
	v_cndmask_b32_e32 v3, v3, v22, vcc
	v_add_u32_e32 v22, 1, v3
	v_cndmask_b32_e64 v22, v3, v22, s[2:3]
	v_mov_b32_e32 v23, v2
.LBB1_45:                               ;   in Loop: Header=BB1_40 Depth=2
	s_or_b64 exec, exec, s[4:5]
	v_mul_lo_u32 v3, v23, s28
	v_mul_lo_u32 v28, v22, s29
	v_mad_u64_u32 v[26:27], s[2:3], v22, s28, 0
	v_add_co_u32_e32 v22, vcc, v22, v10
	v_addc_co_u32_e32 v23, vcc, v23, v11, vcc
	v_add3_u32 v3, v27, v28, v3
	v_mul_lo_u32 v27, v23, s18
	v_mul_lo_u32 v28, v22, s19
	v_mad_u64_u32 v[22:23], s[2:3], v22, s18, 0
	v_sub_co_u32_e32 v24, vcc, v24, v26
	v_subb_co_u32_e32 v25, vcc, v25, v3, vcc
	v_cmp_eq_u64_e64 s[2:3], 0, v[24:25]
	v_add3_u32 v23, v23, v28, v27
	v_mov_b32_e32 v25, v13
	v_mov_b32_e32 v27, v21
	;; [unrolled: 1-line block ×3, first 2 shown]
	s_mov_b64 s[56:57], 0
	v_mov_b32_e32 v24, v12
	v_mov_b32_e32 v26, v20
	;; [unrolled: 1-line block ×3, first 2 shown]
	s_branch .LBB1_48
.LBB1_46:                               ;   in Loop: Header=BB1_48 Depth=3
	s_or_b64 exec, exec, s[4:5]
.LBB1_47:                               ;   in Loop: Header=BB1_48 Depth=3
	s_or_b64 exec, exec, s[58:59]
	v_add_co_u32_e32 v28, vcc, 1, v28
	v_addc_co_u32_e32 v29, vcc, 0, v29, vcc
	v_add_co_u32_e32 v26, vcc, 4, v26
	v_addc_co_u32_e32 v27, vcc, 0, v27, vcc
	v_cmp_ge_i64_e32 vcc, v[28:29], v[18:19]
	v_mov_b32_e32 v3, s27
	s_or_b64 s[56:57], vcc, s[56:57]
	v_subrev_co_u32_e32 v24, vcc, s26, v24
	v_subb_co_u32_e32 v25, vcc, v25, v3, vcc
	s_andn2_b64 exec, exec, s[56:57]
	s_cbranch_execz .LBB1_38
.LBB1_48:                               ;   Parent Loop BB1_4 Depth=1
                                        ;     Parent Loop BB1_40 Depth=2
                                        ; =>    This Inner Loop Header: Depth=3
	s_and_saveexec_b64 s[58:59], s[2:3]
	s_cbranch_execz .LBB1_47
; %bb.49:                               ;   in Loop: Header=BB1_48 Depth=3
	v_or_b32_e32 v3, s31, v25
	v_cmp_ne_u64_e32 vcc, 0, v[2:3]
                                        ; implicit-def: $vgpr30_vgpr31
	s_and_saveexec_b64 s[4:5], vcc
	s_xor_b64 s[60:61], exec, s[4:5]
	s_cbranch_execz .LBB1_51
; %bb.50:                               ;   in Loop: Header=BB1_48 Depth=3
	s_ashr_i32 s62, s31, 31
	s_add_u32 s4, s30, s62
	s_mov_b32 s63, s62
	s_addc_u32 s5, s31, s62
	s_xor_b64 s[64:65], s[4:5], s[62:63]
	v_cvt_f32_u32_e32 v3, s64
	v_cvt_f32_u32_e32 v30, s65
	s_sub_u32 s63, 0, s64
	s_subb_u32 s68, 0, s65
	v_mac_f32_e32 v3, 0x4f800000, v30
	v_rcp_f32_e32 v3, v3
	v_mul_f32_e32 v3, 0x5f7ffffc, v3
	v_mul_f32_e32 v30, 0x2f800000, v3
	v_trunc_f32_e32 v30, v30
	v_mac_f32_e32 v3, 0xcf800000, v30
	v_cvt_u32_f32_e32 v30, v30
	v_cvt_u32_f32_e32 v3, v3
	v_readfirstlane_b32 s69, v30
	v_readfirstlane_b32 s4, v3
	s_mul_i32 s5, s63, s69
	s_mul_hi_u32 s71, s63, s4
	s_mul_i32 s70, s68, s4
	s_add_i32 s5, s71, s5
	s_add_i32 s5, s5, s70
	s_mul_i32 s72, s63, s4
	s_mul_i32 s71, s4, s5
	s_mul_hi_u32 s73, s4, s72
	s_mul_hi_u32 s70, s4, s5
	s_add_u32 s71, s73, s71
	s_addc_u32 s70, 0, s70
	s_mul_hi_u32 s74, s69, s72
	s_mul_i32 s72, s69, s72
	s_add_u32 s71, s71, s72
	s_mul_hi_u32 s73, s69, s5
	s_addc_u32 s70, s70, s74
	s_addc_u32 s71, s73, 0
	s_mul_i32 s5, s69, s5
	s_add_u32 s5, s70, s5
	s_addc_u32 s70, 0, s71
	s_add_u32 s71, s4, s5
	s_cselect_b64 s[4:5], -1, 0
	s_cmp_lg_u64 s[4:5], 0
	s_addc_u32 s69, s69, s70
	s_mul_i32 s4, s63, s69
	s_mul_hi_u32 s5, s63, s71
	s_add_i32 s4, s5, s4
	s_mul_i32 s68, s68, s71
	s_add_i32 s4, s4, s68
	s_mul_i32 s63, s63, s71
	s_mul_hi_u32 s68, s69, s63
	s_mul_i32 s70, s69, s63
	s_mul_i32 s73, s71, s4
	s_mul_hi_u32 s63, s71, s63
	s_mul_hi_u32 s72, s71, s4
	s_add_u32 s63, s63, s73
	s_addc_u32 s72, 0, s72
	s_add_u32 s63, s63, s70
	s_mul_hi_u32 s5, s69, s4
	s_addc_u32 s63, s72, s68
	s_addc_u32 s5, s5, 0
	s_mul_i32 s4, s69, s4
	s_add_u32 s4, s63, s4
	s_addc_u32 s63, 0, s5
	s_add_u32 s68, s71, s4
	s_cselect_b64 s[4:5], -1, 0
	v_ashrrev_i32_e32 v3, 31, v25
	s_cmp_lg_u64 s[4:5], 0
	v_add_co_u32_e32 v30, vcc, v24, v3
	s_addc_u32 s63, s69, s63
	v_xor_b32_e32 v35, v30, v3
	v_mad_u64_u32 v[30:31], s[4:5], v35, s63, 0
	v_mul_hi_u32 v34, v35, s68
	v_addc_co_u32_e32 v33, vcc, v25, v3, vcc
	v_xor_b32_e32 v36, v33, v3
	v_add_co_u32_e32 v37, vcc, v34, v30
	v_addc_co_u32_e32 v38, vcc, 0, v31, vcc
	v_mad_u64_u32 v[30:31], s[4:5], v36, s68, 0
	v_mad_u64_u32 v[33:34], s[4:5], v36, s63, 0
	v_add_co_u32_e32 v30, vcc, v37, v30
	v_addc_co_u32_e32 v30, vcc, v38, v31, vcc
	v_addc_co_u32_e32 v31, vcc, 0, v34, vcc
	v_add_co_u32_e32 v33, vcc, v30, v33
	v_addc_co_u32_e32 v34, vcc, 0, v31, vcc
	v_mul_lo_u32 v37, s65, v33
	v_mul_lo_u32 v38, s64, v34
	v_mad_u64_u32 v[30:31], s[4:5], s64, v33, 0
	v_xor_b32_e32 v3, s62, v3
	v_add3_u32 v31, v31, v38, v37
	v_sub_u32_e32 v37, v36, v31
	v_mov_b32_e32 v38, s65
	v_sub_co_u32_e32 v30, vcc, v35, v30
	v_subb_co_u32_e64 v35, s[4:5], v37, v38, vcc
	v_subrev_co_u32_e64 v37, s[4:5], s64, v30
	v_subbrev_co_u32_e64 v35, s[4:5], 0, v35, s[4:5]
	v_cmp_le_u32_e64 s[4:5], s65, v35
	v_cndmask_b32_e64 v38, 0, -1, s[4:5]
	v_cmp_le_u32_e64 s[4:5], s64, v37
	v_cndmask_b32_e64 v37, 0, -1, s[4:5]
	v_cmp_eq_u32_e64 s[4:5], s65, v35
	v_cndmask_b32_e64 v35, v38, v37, s[4:5]
	v_add_co_u32_e64 v37, s[4:5], 2, v33
	v_subb_co_u32_e32 v31, vcc, v36, v31, vcc
	v_addc_co_u32_e64 v38, s[4:5], 0, v34, s[4:5]
	v_cmp_le_u32_e32 vcc, s65, v31
	v_add_co_u32_e64 v39, s[4:5], 1, v33
	v_cndmask_b32_e64 v36, 0, -1, vcc
	v_cmp_le_u32_e32 vcc, s64, v30
	v_addc_co_u32_e64 v40, s[4:5], 0, v34, s[4:5]
	v_cndmask_b32_e64 v30, 0, -1, vcc
	v_cmp_eq_u32_e32 vcc, s65, v31
	v_cmp_ne_u32_e64 s[4:5], 0, v35
	v_cndmask_b32_e32 v30, v36, v30, vcc
	v_cndmask_b32_e64 v35, v40, v38, s[4:5]
	v_cmp_ne_u32_e32 vcc, 0, v30
	v_cndmask_b32_e64 v31, v39, v37, s[4:5]
	v_cndmask_b32_e32 v30, v34, v35, vcc
	v_cndmask_b32_e32 v31, v33, v31, vcc
	v_xor_b32_e32 v33, v30, v3
	v_xor_b32_e32 v30, v31, v3
	v_sub_co_u32_e32 v30, vcc, v30, v3
	v_subb_co_u32_e32 v31, vcc, v33, v3, vcc
.LBB1_51:                               ;   in Loop: Header=BB1_48 Depth=3
	s_andn2_saveexec_b64 s[4:5], s[60:61]
	s_cbranch_execz .LBB1_53
; %bb.52:                               ;   in Loop: Header=BB1_48 Depth=3
	v_cvt_f32_u32_e32 v3, s30
	s_sub_i32 s60, 0, s30
	v_rcp_iflag_f32_e32 v3, v3
	v_mul_f32_e32 v3, 0x4f7ffffe, v3
	v_cvt_u32_f32_e32 v3, v3
	v_mul_lo_u32 v30, s60, v3
	v_mul_hi_u32 v30, v3, v30
	v_add_u32_e32 v3, v3, v30
	v_mul_hi_u32 v3, v24, v3
	v_mul_lo_u32 v30, v3, s30
	v_add_u32_e32 v31, 1, v3
	v_sub_u32_e32 v30, v24, v30
	v_subrev_u32_e32 v33, s30, v30
	v_cmp_le_u32_e32 vcc, s30, v30
	v_cndmask_b32_e32 v30, v30, v33, vcc
	v_cndmask_b32_e32 v3, v3, v31, vcc
	v_add_u32_e32 v31, 1, v3
	v_cmp_le_u32_e32 vcc, s30, v30
	v_cndmask_b32_e32 v30, v3, v31, vcc
	v_mov_b32_e32 v31, v2
.LBB1_53:                               ;   in Loop: Header=BB1_48 Depth=3
	s_or_b64 exec, exec, s[4:5]
	v_mul_lo_u32 v3, v31, s30
	v_mul_lo_u32 v35, v30, s31
	v_mad_u64_u32 v[33:34], s[4:5], v30, s30, 0
	v_add3_u32 v3, v34, v35, v3
	v_sub_co_u32_e32 v33, vcc, v24, v33
	v_subb_co_u32_e32 v34, vcc, v25, v3, vcc
	v_cmp_eq_u64_e32 vcc, 0, v[33:34]
	s_and_saveexec_b64 s[4:5], vcc
	s_cbranch_execz .LBB1_46
; %bb.54:                               ;   in Loop: Header=BB1_48 Depth=3
	v_add_co_u32_e32 v3, vcc, v22, v30
	v_addc_co_u32_e32 v30, vcc, v23, v31, vcc
	v_mul_lo_u32 v33, v3, s37
	v_mul_lo_u32 v34, v30, s36
	v_mad_u64_u32 v[30:31], s[60:61], v3, s36, v[14:15]
	v_add3_u32 v3, v34, v31, v33
	v_mul_lo_u32 v3, s46, v3
	v_mul_lo_u32 v33, s47, v30
	v_mad_u64_u32 v[30:31], s[60:61], s46, v30, v[26:27]
	v_add3_u32 v31, v33, v31, v3
	global_load_dword v3, v[30:31], off
	s_waitcnt vmcnt(0)
	v_add_f32_e32 v32, v32, v3
	s_branch .LBB1_46
.LBB1_55:
	s_endpgm
	.section	.rodata,"a",@progbits
	.p2align	6, 0x0
	.amdhsa_kernel _ZN2at6native13col2im_kernelIffEEvlPKT_llllllllllllPS2_
		.amdhsa_group_segment_fixed_size 0
		.amdhsa_private_segment_fixed_size 0
		.amdhsa_kernarg_size 376
		.amdhsa_user_sgpr_count 6
		.amdhsa_user_sgpr_private_segment_buffer 1
		.amdhsa_user_sgpr_dispatch_ptr 0
		.amdhsa_user_sgpr_queue_ptr 0
		.amdhsa_user_sgpr_kernarg_segment_ptr 1
		.amdhsa_user_sgpr_dispatch_id 0
		.amdhsa_user_sgpr_flat_scratch_init 0
		.amdhsa_user_sgpr_private_segment_size 0
		.amdhsa_uses_dynamic_stack 0
		.amdhsa_system_sgpr_private_segment_wavefront_offset 0
		.amdhsa_system_sgpr_workgroup_id_x 1
		.amdhsa_system_sgpr_workgroup_id_y 0
		.amdhsa_system_sgpr_workgroup_id_z 0
		.amdhsa_system_sgpr_workgroup_info 0
		.amdhsa_system_vgpr_workitem_id 0
		.amdhsa_next_free_vgpr 41
		.amdhsa_next_free_sgpr 75
		.amdhsa_reserve_vcc 1
		.amdhsa_reserve_flat_scratch 0
		.amdhsa_float_round_mode_32 0
		.amdhsa_float_round_mode_16_64 0
		.amdhsa_float_denorm_mode_32 3
		.amdhsa_float_denorm_mode_16_64 3
		.amdhsa_dx10_clamp 1
		.amdhsa_ieee_mode 1
		.amdhsa_fp16_overflow 0
		.amdhsa_exception_fp_ieee_invalid_op 0
		.amdhsa_exception_fp_denorm_src 0
		.amdhsa_exception_fp_ieee_div_zero 0
		.amdhsa_exception_fp_ieee_overflow 0
		.amdhsa_exception_fp_ieee_underflow 0
		.amdhsa_exception_fp_ieee_inexact 0
		.amdhsa_exception_int_div_zero 0
	.end_amdhsa_kernel
	.section	.text._ZN2at6native13col2im_kernelIffEEvlPKT_llllllllllllPS2_,"axG",@progbits,_ZN2at6native13col2im_kernelIffEEvlPKT_llllllllllllPS2_,comdat
.Lfunc_end1:
	.size	_ZN2at6native13col2im_kernelIffEEvlPKT_llllllllllllPS2_, .Lfunc_end1-_ZN2at6native13col2im_kernelIffEEvlPKT_llllllllllllPS2_
                                        ; -- End function
	.set _ZN2at6native13col2im_kernelIffEEvlPKT_llllllllllllPS2_.num_vgpr, 41
	.set _ZN2at6native13col2im_kernelIffEEvlPKT_llllllllllllPS2_.num_agpr, 0
	.set _ZN2at6native13col2im_kernelIffEEvlPKT_llllllllllllPS2_.numbered_sgpr, 75
	.set _ZN2at6native13col2im_kernelIffEEvlPKT_llllllllllllPS2_.num_named_barrier, 0
	.set _ZN2at6native13col2im_kernelIffEEvlPKT_llllllllllllPS2_.private_seg_size, 0
	.set _ZN2at6native13col2im_kernelIffEEvlPKT_llllllllllllPS2_.uses_vcc, 1
	.set _ZN2at6native13col2im_kernelIffEEvlPKT_llllllllllllPS2_.uses_flat_scratch, 0
	.set _ZN2at6native13col2im_kernelIffEEvlPKT_llllllllllllPS2_.has_dyn_sized_stack, 0
	.set _ZN2at6native13col2im_kernelIffEEvlPKT_llllllllllllPS2_.has_recursion, 0
	.set _ZN2at6native13col2im_kernelIffEEvlPKT_llllllllllllPS2_.has_indirect_call, 0
	.section	.AMDGPU.csdata,"",@progbits
; Kernel info:
; codeLenInByte = 7660
; TotalNumSgprs: 79
; NumVgprs: 41
; ScratchSize: 0
; MemoryBound: 0
; FloatMode: 240
; IeeeMode: 1
; LDSByteSize: 0 bytes/workgroup (compile time only)
; SGPRBlocks: 9
; VGPRBlocks: 10
; NumSGPRsForWavesPerEU: 79
; NumVGPRsForWavesPerEU: 41
; Occupancy: 5
; WaveLimiterHint : 0
; COMPUTE_PGM_RSRC2:SCRATCH_EN: 0
; COMPUTE_PGM_RSRC2:USER_SGPR: 6
; COMPUTE_PGM_RSRC2:TRAP_HANDLER: 0
; COMPUTE_PGM_RSRC2:TGID_X_EN: 1
; COMPUTE_PGM_RSRC2:TGID_Y_EN: 0
; COMPUTE_PGM_RSRC2:TGID_Z_EN: 0
; COMPUTE_PGM_RSRC2:TIDIG_COMP_CNT: 0
	.section	.text._ZN2at6native13col2im_kernelIN3c104HalfEfEEvlPKT_llllllllllllPS4_,"axG",@progbits,_ZN2at6native13col2im_kernelIN3c104HalfEfEEvlPKT_llllllllllllPS4_,comdat
	.protected	_ZN2at6native13col2im_kernelIN3c104HalfEfEEvlPKT_llllllllllllPS4_ ; -- Begin function _ZN2at6native13col2im_kernelIN3c104HalfEfEEvlPKT_llllllllllllPS4_
	.globl	_ZN2at6native13col2im_kernelIN3c104HalfEfEEvlPKT_llllllllllllPS4_
	.p2align	8
	.type	_ZN2at6native13col2im_kernelIN3c104HalfEfEEvlPKT_llllllllllllPS4_,@function
_ZN2at6native13col2im_kernelIN3c104HalfEfEEvlPKT_llllllllllllPS4_: ; @_ZN2at6native13col2im_kernelIN3c104HalfEfEEvlPKT_llllllllllllPS4_
; %bb.0:
	s_load_dword s2, s[4:5], 0x84
	s_load_dwordx16 s[8:23], s[4:5], 0x0
	s_add_u32 s0, s4, 0x78
	v_mov_b32_e32 v2, 0
	s_addc_u32 s1, s5, 0
	s_waitcnt lgkmcnt(0)
	s_and_b32 s2, s2, 0xffff
	v_mov_b32_e32 v1, v2
	v_mov_b32_e32 v3, s6
	v_mad_u64_u32 v[0:1], s[6:7], s2, v3, v[0:1]
	v_cmp_gt_i64_e32 vcc, s[8:9], v[0:1]
	s_and_saveexec_b64 s[6:7], vcc
	s_cbranch_execz .LBB2_55
; %bb.1:
	s_load_dwordx8 s[24:31], s[4:5], 0x40
	s_load_dwordx8 s[36:43], s[4:5], 0x60
	s_load_dword s3, s[0:1], 0x0
	s_mul_i32 s0, s14, s13
	s_mul_hi_u32 s1, s14, s12
	s_add_i32 s0, s1, s0
	s_mul_i32 s1, s15, s12
	s_add_i32 s33, s0, s1
	s_add_u32 s0, s18, -1
	s_addc_u32 s1, s19, -1
	s_waitcnt lgkmcnt(0)
	s_mul_i32 s1, s30, s1
	s_mul_hi_u32 s4, s30, s0
	s_add_i32 s1, s4, s1
	s_mul_i32 s4, s31, s0
	s_add_i32 s7, s1, s4
	s_mul_i32 s6, s30, s0
	s_add_u32 s0, s16, -1
	s_addc_u32 s1, s17, -1
	s_mul_i32 s1, s28, s1
	s_mul_hi_u32 s4, s28, s0
	s_add_i32 s1, s4, s1
	s_mul_i32 s4, s29, s0
	s_add_i32 s35, s1, s4
	s_mul_i32 s34, s28, s0
	s_mul_i32 s66, s14, s12
	s_not_b64 s[42:43], s[34:35]
	s_not_b64 s[44:45], s[6:7]
	s_mul_i32 s67, s3, s2
	s_lshl_b64 s[46:47], s[38:39], 1
	s_mov_b64 s[48:49], 0
	s_branch .LBB2_4
.LBB2_2:                                ;   in Loop: Header=BB2_4 Depth=1
	s_or_b64 exec, exec, s[52:53]
	v_cvt_f16_f32_e32 v3, v32
.LBB2_3:                                ;   in Loop: Header=BB2_4 Depth=1
	s_or_b64 exec, exec, s[50:51]
	v_add_co_u32_e32 v0, vcc, s67, v0
	v_lshlrev_b64 v[4:5], 1, v[4:5]
	v_addc_co_u32_e32 v1, vcc, 0, v1, vcc
	v_cmp_le_i64_e32 vcc, s[8:9], v[0:1]
	v_mov_b32_e32 v6, s41
	v_add_co_u32_e64 v4, s[0:1], s40, v4
	v_addc_co_u32_e64 v5, s[0:1], v6, v5, s[0:1]
	s_or_b64 s[48:49], vcc, s[48:49]
	global_store_short v[4:5], v3, off
	s_andn2_b64 exec, exec, s[48:49]
	s_cbranch_execz .LBB2_55
.LBB2_4:                                ; =>This Loop Header: Depth=1
                                        ;     Child Loop BB2_40 Depth 2
                                        ;       Child Loop BB2_48 Depth 3
	v_ashrrev_i32_e32 v5, 31, v0
	v_or_b32_e32 v3, s15, v5
	v_cmp_ne_u64_e32 vcc, 0, v[2:3]
	v_mov_b32_e32 v4, v0
	v_ashrrev_i32_e32 v12, 31, v5
                                        ; implicit-def: $vgpr6_vgpr7
	s_and_saveexec_b64 s[0:1], vcc
	s_xor_b64 s[2:3], exec, s[0:1]
	s_cbranch_execz .LBB2_6
; %bb.5:                                ;   in Loop: Header=BB2_4 Depth=1
	s_ashr_i32 s4, s15, 31
	s_add_u32 s0, s14, s4
	s_mov_b32 s5, s4
	s_addc_u32 s1, s15, s4
	s_xor_b64 s[50:51], s[0:1], s[4:5]
	v_cvt_f32_u32_e32 v3, s50
	v_cvt_f32_u32_e32 v6, s51
	s_sub_u32 s5, 0, s50
	s_subb_u32 s52, 0, s51
	v_mac_f32_e32 v3, 0x4f800000, v6
	v_rcp_f32_e32 v3, v3
	v_mul_f32_e32 v3, 0x5f7ffffc, v3
	v_mul_f32_e32 v6, 0x2f800000, v3
	v_trunc_f32_e32 v6, v6
	v_mac_f32_e32 v3, 0xcf800000, v6
	v_cvt_u32_f32_e32 v6, v6
	v_cvt_u32_f32_e32 v3, v3
	v_readfirstlane_b32 s53, v6
	v_readfirstlane_b32 s0, v3
	s_mul_i32 s1, s5, s53
	s_mul_hi_u32 s55, s5, s0
	s_mul_i32 s54, s52, s0
	s_add_i32 s1, s55, s1
	s_add_i32 s1, s1, s54
	s_mul_i32 s56, s5, s0
	s_mul_i32 s55, s0, s1
	s_mul_hi_u32 s57, s0, s56
	s_mul_hi_u32 s54, s0, s1
	s_add_u32 s55, s57, s55
	s_addc_u32 s54, 0, s54
	s_mul_hi_u32 s58, s53, s56
	s_mul_i32 s56, s53, s56
	s_add_u32 s55, s55, s56
	s_mul_hi_u32 s57, s53, s1
	s_addc_u32 s54, s54, s58
	s_addc_u32 s55, s57, 0
	s_mul_i32 s1, s53, s1
	s_add_u32 s1, s54, s1
	s_addc_u32 s54, 0, s55
	s_add_u32 s55, s0, s1
	s_cselect_b64 s[0:1], -1, 0
	s_cmp_lg_u64 s[0:1], 0
	s_addc_u32 s53, s53, s54
	s_mul_i32 s0, s5, s53
	s_mul_hi_u32 s1, s5, s55
	s_add_i32 s0, s1, s0
	s_mul_i32 s52, s52, s55
	s_add_i32 s0, s0, s52
	s_mul_i32 s5, s5, s55
	s_mul_hi_u32 s52, s53, s5
	s_mul_i32 s54, s53, s5
	s_mul_i32 s57, s55, s0
	s_mul_hi_u32 s5, s55, s5
	s_mul_hi_u32 s56, s55, s0
	s_add_u32 s5, s5, s57
	s_addc_u32 s56, 0, s56
	s_add_u32 s5, s5, s54
	s_mul_hi_u32 s1, s53, s0
	s_addc_u32 s5, s56, s52
	s_addc_u32 s1, s1, 0
	s_mul_i32 s0, s53, s0
	s_add_u32 s0, s5, s0
	s_addc_u32 s5, 0, s1
	s_add_u32 s52, s55, s0
	s_cselect_b64 s[0:1], -1, 0
	s_cmp_lg_u64 s[0:1], 0
	v_add_co_u32_e32 v3, vcc, v4, v12
	s_addc_u32 s5, s53, s5
	v_xor_b32_e32 v3, v3, v12
	v_mad_u64_u32 v[6:7], s[0:1], v3, s5, 0
	v_mul_hi_u32 v9, v3, s52
	v_addc_co_u32_e32 v8, vcc, v5, v12, vcc
	v_xor_b32_e32 v10, v8, v12
	v_add_co_u32_e32 v11, vcc, v9, v6
	v_addc_co_u32_e32 v13, vcc, 0, v7, vcc
	v_mad_u64_u32 v[6:7], s[0:1], v10, s52, 0
	v_mad_u64_u32 v[8:9], s[0:1], v10, s5, 0
	v_add_co_u32_e32 v6, vcc, v11, v6
	v_addc_co_u32_e32 v6, vcc, v13, v7, vcc
	v_addc_co_u32_e32 v7, vcc, 0, v9, vcc
	v_add_co_u32_e32 v8, vcc, v6, v8
	v_addc_co_u32_e32 v9, vcc, 0, v7, vcc
	v_mul_lo_u32 v11, s51, v8
	v_mul_lo_u32 v13, s50, v9
	v_mad_u64_u32 v[6:7], s[0:1], s50, v8, 0
	v_add3_u32 v7, v7, v13, v11
	v_sub_u32_e32 v11, v10, v7
	v_mov_b32_e32 v13, s51
	v_sub_co_u32_e32 v3, vcc, v3, v6
	v_subb_co_u32_e64 v6, s[0:1], v11, v13, vcc
	v_subrev_co_u32_e64 v11, s[0:1], s50, v3
	v_subbrev_co_u32_e64 v6, s[0:1], 0, v6, s[0:1]
	v_cmp_le_u32_e64 s[0:1], s51, v6
	v_cndmask_b32_e64 v13, 0, -1, s[0:1]
	v_cmp_le_u32_e64 s[0:1], s50, v11
	v_cndmask_b32_e64 v11, 0, -1, s[0:1]
	v_cmp_eq_u32_e64 s[0:1], s51, v6
	v_cndmask_b32_e64 v6, v13, v11, s[0:1]
	v_add_co_u32_e64 v11, s[0:1], 2, v8
	v_subb_co_u32_e32 v7, vcc, v10, v7, vcc
	v_addc_co_u32_e64 v13, s[0:1], 0, v9, s[0:1]
	v_cmp_le_u32_e32 vcc, s51, v7
	v_add_co_u32_e64 v14, s[0:1], 1, v8
	v_cndmask_b32_e64 v10, 0, -1, vcc
	v_cmp_le_u32_e32 vcc, s50, v3
	v_addc_co_u32_e64 v15, s[0:1], 0, v9, s[0:1]
	v_cndmask_b32_e64 v3, 0, -1, vcc
	v_cmp_eq_u32_e32 vcc, s51, v7
	v_cmp_ne_u32_e64 s[0:1], 0, v6
	v_cndmask_b32_e32 v3, v10, v3, vcc
	v_cndmask_b32_e64 v6, v15, v13, s[0:1]
	v_cmp_ne_u32_e32 vcc, 0, v3
	v_cndmask_b32_e32 v3, v9, v6, vcc
	v_cndmask_b32_e64 v6, v14, v11, s[0:1]
	v_cndmask_b32_e32 v6, v8, v6, vcc
	v_xor_b32_e32 v7, s4, v12
	v_xor_b32_e32 v6, v6, v7
	;; [unrolled: 1-line block ×3, first 2 shown]
	v_sub_co_u32_e32 v6, vcc, v6, v7
	v_subb_co_u32_e32 v7, vcc, v3, v7, vcc
.LBB2_6:                                ;   in Loop: Header=BB2_4 Depth=1
	s_andn2_saveexec_b64 s[0:1], s[2:3]
	s_cbranch_execz .LBB2_8
; %bb.7:                                ;   in Loop: Header=BB2_4 Depth=1
	v_cvt_f32_u32_e32 v3, s14
	s_sub_i32 s2, 0, s14
	v_rcp_iflag_f32_e32 v3, v3
	v_mul_f32_e32 v3, 0x4f7ffffe, v3
	v_cvt_u32_f32_e32 v3, v3
	v_mul_lo_u32 v6, s2, v3
	v_mul_hi_u32 v6, v3, v6
	v_add_u32_e32 v3, v3, v6
	v_mul_hi_u32 v3, v4, v3
	v_mul_lo_u32 v6, v3, s14
	v_add_u32_e32 v7, 1, v3
	v_sub_u32_e32 v6, v4, v6
	v_subrev_u32_e32 v8, s14, v6
	v_cmp_le_u32_e32 vcc, s14, v6
	v_cndmask_b32_e32 v6, v6, v8, vcc
	v_cndmask_b32_e32 v3, v3, v7, vcc
	v_add_u32_e32 v7, 1, v3
	v_cmp_le_u32_e32 vcc, s14, v6
	v_cndmask_b32_e32 v6, v3, v7, vcc
	v_mov_b32_e32 v7, v2
.LBB2_8:                                ;   in Loop: Header=BB2_4 Depth=1
	s_or_b64 exec, exec, s[0:1]
	v_or_b32_e32 v3, s13, v7
	v_cmp_ne_u64_e32 vcc, 0, v[2:3]
                                        ; implicit-def: $vgpr8_vgpr9
	s_and_saveexec_b64 s[0:1], vcc
	s_xor_b64 s[4:5], exec, s[0:1]
	s_cbranch_execz .LBB2_10
; %bb.9:                                ;   in Loop: Header=BB2_4 Depth=1
	s_ashr_i32 s0, s13, 31
	s_add_u32 s2, s12, s0
	s_mov_b32 s1, s0
	s_addc_u32 s3, s13, s0
	s_xor_b64 s[50:51], s[2:3], s[0:1]
	v_cvt_f32_u32_e32 v3, s50
	v_cvt_f32_u32_e32 v8, s51
	s_sub_u32 s2, 0, s50
	s_subb_u32 s3, 0, s51
	v_mac_f32_e32 v3, 0x4f800000, v8
	v_rcp_f32_e32 v3, v3
	v_mul_f32_e32 v3, 0x5f7ffffc, v3
	v_mul_f32_e32 v8, 0x2f800000, v3
	v_trunc_f32_e32 v8, v8
	v_mac_f32_e32 v3, 0xcf800000, v8
	v_cvt_u32_f32_e32 v8, v8
	v_cvt_u32_f32_e32 v3, v3
	v_readfirstlane_b32 s52, v8
	v_readfirstlane_b32 s0, v3
	s_mul_i32 s1, s2, s52
	s_mul_hi_u32 s54, s2, s0
	s_mul_i32 s53, s3, s0
	s_add_i32 s1, s54, s1
	s_add_i32 s1, s1, s53
	s_mul_i32 s55, s2, s0
	s_mul_i32 s54, s0, s1
	s_mul_hi_u32 s56, s0, s55
	s_mul_hi_u32 s53, s0, s1
	s_add_u32 s54, s56, s54
	s_addc_u32 s53, 0, s53
	s_mul_hi_u32 s57, s52, s55
	s_mul_i32 s55, s52, s55
	s_add_u32 s54, s54, s55
	s_mul_hi_u32 s56, s52, s1
	s_addc_u32 s53, s53, s57
	s_addc_u32 s54, s56, 0
	s_mul_i32 s1, s52, s1
	s_add_u32 s1, s53, s1
	s_addc_u32 s53, 0, s54
	s_add_u32 s54, s0, s1
	s_cselect_b64 s[0:1], -1, 0
	s_cmp_lg_u64 s[0:1], 0
	s_addc_u32 s52, s52, s53
	s_mul_i32 s0, s2, s52
	s_mul_hi_u32 s1, s2, s54
	s_add_i32 s0, s1, s0
	s_mul_i32 s3, s3, s54
	s_add_i32 s0, s0, s3
	s_mul_i32 s2, s2, s54
	s_mul_hi_u32 s3, s52, s2
	s_mul_i32 s53, s52, s2
	s_mul_i32 s56, s54, s0
	s_mul_hi_u32 s2, s54, s2
	s_mul_hi_u32 s55, s54, s0
	s_add_u32 s2, s2, s56
	s_addc_u32 s55, 0, s55
	s_add_u32 s2, s2, s53
	s_mul_hi_u32 s1, s52, s0
	s_addc_u32 s2, s55, s3
	s_addc_u32 s1, s1, 0
	s_mul_i32 s0, s52, s0
	s_add_u32 s0, s2, s0
	s_addc_u32 s2, 0, s1
	s_add_u32 s3, s54, s0
	s_cselect_b64 s[0:1], -1, 0
	v_ashrrev_i32_e32 v3, 31, v7
	s_cmp_lg_u64 s[0:1], 0
	v_add_co_u32_e32 v8, vcc, v6, v3
	s_addc_u32 s2, s52, s2
	v_xor_b32_e32 v13, v8, v3
	v_mad_u64_u32 v[8:9], s[0:1], v13, s2, 0
	v_mul_hi_u32 v11, v13, s3
	v_addc_co_u32_e32 v10, vcc, v7, v3, vcc
	v_xor_b32_e32 v14, v10, v3
	v_add_co_u32_e32 v15, vcc, v11, v8
	v_addc_co_u32_e32 v16, vcc, 0, v9, vcc
	v_mad_u64_u32 v[8:9], s[0:1], v14, s3, 0
	v_mad_u64_u32 v[10:11], s[0:1], v14, s2, 0
	v_add_co_u32_e32 v8, vcc, v15, v8
	v_addc_co_u32_e32 v8, vcc, v16, v9, vcc
	v_addc_co_u32_e32 v9, vcc, 0, v11, vcc
	v_add_co_u32_e32 v8, vcc, v8, v10
	v_addc_co_u32_e32 v9, vcc, 0, v9, vcc
	v_mul_lo_u32 v10, s51, v8
	v_mul_lo_u32 v11, s50, v9
	v_mad_u64_u32 v[8:9], s[0:1], s50, v8, 0
	v_add3_u32 v9, v9, v11, v10
	v_sub_u32_e32 v10, v14, v9
	v_mov_b32_e32 v11, s51
	v_sub_co_u32_e32 v8, vcc, v13, v8
	v_subb_co_u32_e64 v10, s[0:1], v10, v11, vcc
	v_subrev_co_u32_e64 v13, s[0:1], s50, v8
	v_subbrev_co_u32_e64 v15, s[2:3], 0, v10, s[0:1]
	v_cmp_le_u32_e64 s[2:3], s51, v15
	v_cndmask_b32_e64 v16, 0, -1, s[2:3]
	v_cmp_le_u32_e64 s[2:3], s50, v13
	v_subb_co_u32_e64 v10, s[0:1], v10, v11, s[0:1]
	v_cndmask_b32_e64 v17, 0, -1, s[2:3]
	v_cmp_eq_u32_e64 s[2:3], s51, v15
	v_subrev_co_u32_e64 v11, s[0:1], s50, v13
	v_subb_co_u32_e32 v9, vcc, v14, v9, vcc
	v_cndmask_b32_e64 v16, v16, v17, s[2:3]
	v_subbrev_co_u32_e64 v10, s[0:1], 0, v10, s[0:1]
	v_cmp_le_u32_e32 vcc, s51, v9
	v_cmp_ne_u32_e64 s[0:1], 0, v16
	v_cndmask_b32_e64 v14, 0, -1, vcc
	v_cmp_le_u32_e32 vcc, s50, v8
	v_cndmask_b32_e64 v10, v15, v10, s[0:1]
	v_cndmask_b32_e64 v15, 0, -1, vcc
	v_cmp_eq_u32_e32 vcc, s51, v9
	v_cndmask_b32_e32 v14, v14, v15, vcc
	v_cmp_ne_u32_e32 vcc, 0, v14
	v_cndmask_b32_e32 v9, v9, v10, vcc
	v_cndmask_b32_e64 v10, v13, v11, s[0:1]
	v_cndmask_b32_e32 v8, v8, v10, vcc
	v_xor_b32_e32 v8, v8, v3
	v_xor_b32_e32 v9, v9, v3
	v_sub_co_u32_e32 v8, vcc, v8, v3
	v_subb_co_u32_e32 v9, vcc, v9, v3, vcc
.LBB2_10:                               ;   in Loop: Header=BB2_4 Depth=1
	s_andn2_saveexec_b64 s[0:1], s[4:5]
	s_cbranch_execz .LBB2_12
; %bb.11:                               ;   in Loop: Header=BB2_4 Depth=1
	v_cvt_f32_u32_e32 v3, s12
	s_sub_i32 s2, 0, s12
	v_mov_b32_e32 v9, v2
	v_rcp_iflag_f32_e32 v3, v3
	v_mul_f32_e32 v3, 0x4f7ffffe, v3
	v_cvt_u32_f32_e32 v3, v3
	v_mul_lo_u32 v8, s2, v3
	v_mul_hi_u32 v8, v3, v8
	v_add_u32_e32 v3, v3, v8
	v_mul_hi_u32 v3, v6, v3
	v_mul_lo_u32 v3, v3, s12
	v_sub_u32_e32 v3, v6, v3
	v_subrev_u32_e32 v8, s12, v3
	v_cmp_le_u32_e32 vcc, s12, v3
	v_cndmask_b32_e32 v3, v3, v8, vcc
	v_subrev_u32_e32 v8, s12, v3
	v_cmp_le_u32_e32 vcc, s12, v3
	v_cndmask_b32_e32 v8, v3, v8, vcc
.LBB2_12:                               ;   in Loop: Header=BB2_4 Depth=1
	s_or_b64 exec, exec, s[0:1]
	v_or_b32_e32 v3, s33, v5
	v_cmp_ne_u64_e32 vcc, 0, v[2:3]
                                        ; implicit-def: $vgpr10_vgpr11
	s_and_saveexec_b64 s[0:1], vcc
	s_xor_b64 s[2:3], exec, s[0:1]
	s_cbranch_execz .LBB2_14
; %bb.13:                               ;   in Loop: Header=BB2_4 Depth=1
	s_ashr_i32 s4, s33, 31
	s_add_u32 s0, s66, s4
	s_mov_b32 s5, s4
	s_addc_u32 s1, s33, s4
	s_xor_b64 s[50:51], s[0:1], s[4:5]
	v_cvt_f32_u32_e32 v3, s50
	v_cvt_f32_u32_e32 v10, s51
	s_sub_u32 s5, 0, s50
	s_subb_u32 s52, 0, s51
	v_mac_f32_e32 v3, 0x4f800000, v10
	v_rcp_f32_e32 v3, v3
	v_mul_f32_e32 v3, 0x5f7ffffc, v3
	v_mul_f32_e32 v10, 0x2f800000, v3
	v_trunc_f32_e32 v10, v10
	v_mac_f32_e32 v3, 0xcf800000, v10
	v_cvt_u32_f32_e32 v10, v10
	v_cvt_u32_f32_e32 v3, v3
	v_readfirstlane_b32 s53, v10
	v_readfirstlane_b32 s0, v3
	s_mul_i32 s1, s5, s53
	s_mul_hi_u32 s55, s5, s0
	s_mul_i32 s54, s52, s0
	s_add_i32 s1, s55, s1
	s_add_i32 s1, s1, s54
	s_mul_i32 s56, s5, s0
	s_mul_i32 s55, s0, s1
	s_mul_hi_u32 s57, s0, s56
	s_mul_hi_u32 s54, s0, s1
	s_add_u32 s55, s57, s55
	s_addc_u32 s54, 0, s54
	s_mul_hi_u32 s58, s53, s56
	s_mul_i32 s56, s53, s56
	s_add_u32 s55, s55, s56
	s_mul_hi_u32 s57, s53, s1
	s_addc_u32 s54, s54, s58
	s_addc_u32 s55, s57, 0
	s_mul_i32 s1, s53, s1
	s_add_u32 s1, s54, s1
	s_addc_u32 s54, 0, s55
	s_add_u32 s55, s0, s1
	s_cselect_b64 s[0:1], -1, 0
	s_cmp_lg_u64 s[0:1], 0
	s_addc_u32 s53, s53, s54
	s_mul_i32 s0, s5, s53
	s_mul_hi_u32 s1, s5, s55
	s_add_i32 s0, s1, s0
	s_mul_i32 s52, s52, s55
	s_add_i32 s0, s0, s52
	s_mul_i32 s5, s5, s55
	s_mul_hi_u32 s52, s53, s5
	s_mul_i32 s54, s53, s5
	s_mul_i32 s57, s55, s0
	s_mul_hi_u32 s5, s55, s5
	s_mul_hi_u32 s56, s55, s0
	s_add_u32 s5, s5, s57
	s_addc_u32 s56, 0, s56
	s_add_u32 s5, s5, s54
	s_mul_hi_u32 s1, s53, s0
	s_addc_u32 s5, s56, s52
	s_addc_u32 s1, s1, 0
	s_mul_i32 s0, s53, s0
	s_add_u32 s0, s5, s0
	s_addc_u32 s5, 0, s1
	s_add_u32 s52, s55, s0
	s_cselect_b64 s[0:1], -1, 0
	s_cmp_lg_u64 s[0:1], 0
	v_add_co_u32_e32 v3, vcc, v4, v12
	s_addc_u32 s5, s53, s5
	v_xor_b32_e32 v3, v3, v12
	v_mad_u64_u32 v[10:11], s[0:1], v3, s5, 0
	v_mul_hi_u32 v14, v3, s52
	v_addc_co_u32_e32 v13, vcc, v5, v12, vcc
	v_xor_b32_e32 v15, v13, v12
	v_add_co_u32_e32 v16, vcc, v14, v10
	v_addc_co_u32_e32 v17, vcc, 0, v11, vcc
	v_mad_u64_u32 v[10:11], s[0:1], v15, s52, 0
	v_mad_u64_u32 v[13:14], s[0:1], v15, s5, 0
	v_add_co_u32_e32 v10, vcc, v16, v10
	v_addc_co_u32_e32 v10, vcc, v17, v11, vcc
	v_addc_co_u32_e32 v11, vcc, 0, v14, vcc
	v_add_co_u32_e32 v13, vcc, v10, v13
	v_addc_co_u32_e32 v14, vcc, 0, v11, vcc
	v_mul_lo_u32 v16, s51, v13
	v_mul_lo_u32 v17, s50, v14
	v_mad_u64_u32 v[10:11], s[0:1], s50, v13, 0
	v_add3_u32 v11, v11, v17, v16
	v_sub_u32_e32 v16, v15, v11
	v_mov_b32_e32 v17, s51
	v_sub_co_u32_e32 v3, vcc, v3, v10
	v_subb_co_u32_e64 v10, s[0:1], v16, v17, vcc
	v_subrev_co_u32_e64 v16, s[0:1], s50, v3
	v_subbrev_co_u32_e64 v10, s[0:1], 0, v10, s[0:1]
	v_cmp_le_u32_e64 s[0:1], s51, v10
	v_cndmask_b32_e64 v17, 0, -1, s[0:1]
	v_cmp_le_u32_e64 s[0:1], s50, v16
	v_cndmask_b32_e64 v16, 0, -1, s[0:1]
	v_cmp_eq_u32_e64 s[0:1], s51, v10
	v_cndmask_b32_e64 v10, v17, v16, s[0:1]
	v_add_co_u32_e64 v16, s[0:1], 2, v13
	v_subb_co_u32_e32 v11, vcc, v15, v11, vcc
	v_addc_co_u32_e64 v17, s[0:1], 0, v14, s[0:1]
	v_cmp_le_u32_e32 vcc, s51, v11
	v_add_co_u32_e64 v18, s[0:1], 1, v13
	v_cndmask_b32_e64 v15, 0, -1, vcc
	v_cmp_le_u32_e32 vcc, s50, v3
	v_addc_co_u32_e64 v19, s[0:1], 0, v14, s[0:1]
	v_cndmask_b32_e64 v3, 0, -1, vcc
	v_cmp_eq_u32_e32 vcc, s51, v11
	v_cmp_ne_u32_e64 s[0:1], 0, v10
	v_cndmask_b32_e32 v3, v15, v3, vcc
	v_cndmask_b32_e64 v10, v19, v17, s[0:1]
	v_cmp_ne_u32_e32 vcc, 0, v3
	v_cndmask_b32_e32 v3, v14, v10, vcc
	v_cndmask_b32_e64 v10, v18, v16, s[0:1]
	v_cndmask_b32_e32 v10, v13, v10, vcc
	v_xor_b32_e32 v11, s4, v12
	v_xor_b32_e32 v10, v10, v11
	;; [unrolled: 1-line block ×3, first 2 shown]
	v_sub_co_u32_e32 v10, vcc, v10, v11
	v_subb_co_u32_e32 v11, vcc, v3, v11, vcc
.LBB2_14:                               ;   in Loop: Header=BB2_4 Depth=1
	s_andn2_saveexec_b64 s[0:1], s[2:3]
	s_cbranch_execz .LBB2_16
; %bb.15:                               ;   in Loop: Header=BB2_4 Depth=1
	v_cvt_f32_u32_e32 v3, s66
	s_sub_i32 s2, 0, s66
	v_rcp_iflag_f32_e32 v3, v3
	v_mul_f32_e32 v3, 0x4f7ffffe, v3
	v_cvt_u32_f32_e32 v3, v3
	v_mul_lo_u32 v10, s2, v3
	v_mul_hi_u32 v10, v3, v10
	v_add_u32_e32 v3, v3, v10
	v_mul_hi_u32 v3, v0, v3
	v_mul_lo_u32 v10, v3, s66
	v_add_u32_e32 v11, 1, v3
	v_sub_u32_e32 v10, v0, v10
	v_subrev_u32_e32 v12, s66, v10
	v_cmp_le_u32_e32 vcc, s66, v10
	v_cndmask_b32_e32 v10, v10, v12, vcc
	v_cndmask_b32_e32 v3, v3, v11, vcc
	v_add_u32_e32 v11, 1, v3
	v_cmp_le_u32_e32 vcc, s66, v10
	v_cndmask_b32_e32 v10, v3, v11, vcc
	v_mov_b32_e32 v11, v2
.LBB2_16:                               ;   in Loop: Header=BB2_4 Depth=1
	s_or_b64 exec, exec, s[0:1]
	v_mul_lo_u32 v3, v7, s14
	v_mul_lo_u32 v7, v6, s15
	v_mad_u64_u32 v[12:13], s[0:1], v6, s14, 0
	v_add3_u32 v13, v13, v7, v3
	v_sub_co_u32_e32 v3, vcc, v4, v12
	v_subb_co_u32_e32 v6, vcc, v5, v13, vcc
	v_mov_b32_e32 v7, s23
	v_add_co_u32_e32 v14, vcc, s22, v3
	v_addc_co_u32_e32 v15, vcc, v6, v7, vcc
	v_cmp_lt_i64_e32 vcc, s[6:7], v[14:15]
	v_mov_b32_e32 v6, 0
	v_mov_b32_e32 v7, 0
	s_and_saveexec_b64 s[2:3], vcc
	s_cbranch_execz .LBB2_22
; %bb.17:                               ;   in Loop: Header=BB2_4 Depth=1
	v_mov_b32_e32 v3, s45
	v_add_co_u32_e32 v16, vcc, s44, v14
	v_addc_co_u32_e32 v17, vcc, v15, v3, vcc
	v_or_b32_e32 v3, s27, v17
	v_cmp_ne_u64_e32 vcc, 0, v[2:3]
                                        ; implicit-def: $vgpr6_vgpr7
	s_and_saveexec_b64 s[0:1], vcc
	s_xor_b64 s[4:5], exec, s[0:1]
	s_cbranch_execz .LBB2_19
; %bb.18:                               ;   in Loop: Header=BB2_4 Depth=1
	s_ashr_i32 s50, s27, 31
	s_add_u32 s0, s26, s50
	s_mov_b32 s51, s50
	s_addc_u32 s1, s27, s50
	s_xor_b64 s[52:53], s[0:1], s[50:51]
	v_cvt_f32_u32_e32 v3, s52
	v_cvt_f32_u32_e32 v6, s53
	s_sub_u32 s51, 0, s52
	s_subb_u32 s54, 0, s53
	v_mac_f32_e32 v3, 0x4f800000, v6
	v_rcp_f32_e32 v3, v3
	v_mul_f32_e32 v3, 0x5f7ffffc, v3
	v_mul_f32_e32 v6, 0x2f800000, v3
	v_trunc_f32_e32 v6, v6
	v_mac_f32_e32 v3, 0xcf800000, v6
	v_cvt_u32_f32_e32 v6, v6
	v_cvt_u32_f32_e32 v3, v3
	v_readfirstlane_b32 s55, v6
	v_readfirstlane_b32 s0, v3
	s_mul_i32 s1, s51, s55
	s_mul_hi_u32 s57, s51, s0
	s_mul_i32 s56, s54, s0
	s_add_i32 s1, s57, s1
	s_add_i32 s1, s1, s56
	s_mul_i32 s58, s51, s0
	s_mul_i32 s57, s0, s1
	s_mul_hi_u32 s59, s0, s58
	s_mul_hi_u32 s56, s0, s1
	s_add_u32 s57, s59, s57
	s_addc_u32 s56, 0, s56
	s_mul_hi_u32 s60, s55, s58
	s_mul_i32 s58, s55, s58
	s_add_u32 s57, s57, s58
	s_mul_hi_u32 s59, s55, s1
	s_addc_u32 s56, s56, s60
	s_addc_u32 s57, s59, 0
	s_mul_i32 s1, s55, s1
	s_add_u32 s1, s56, s1
	s_addc_u32 s56, 0, s57
	s_add_u32 s57, s0, s1
	s_cselect_b64 s[0:1], -1, 0
	s_cmp_lg_u64 s[0:1], 0
	s_addc_u32 s55, s55, s56
	s_mul_i32 s0, s51, s55
	s_mul_hi_u32 s1, s51, s57
	s_add_i32 s0, s1, s0
	s_mul_i32 s54, s54, s57
	s_add_i32 s0, s0, s54
	s_mul_i32 s51, s51, s57
	s_mul_hi_u32 s54, s55, s51
	s_mul_i32 s56, s55, s51
	s_mul_i32 s59, s57, s0
	s_mul_hi_u32 s51, s57, s51
	s_mul_hi_u32 s58, s57, s0
	s_add_u32 s51, s51, s59
	s_addc_u32 s58, 0, s58
	s_add_u32 s51, s51, s56
	s_mul_hi_u32 s1, s55, s0
	s_addc_u32 s51, s58, s54
	s_addc_u32 s1, s1, 0
	s_mul_i32 s0, s55, s0
	s_add_u32 s0, s51, s0
	s_addc_u32 s51, 0, s1
	s_add_u32 s54, s57, s0
	s_cselect_b64 s[0:1], -1, 0
	v_ashrrev_i32_e32 v3, 31, v17
	s_cmp_lg_u64 s[0:1], 0
	v_add_co_u32_e32 v6, vcc, v16, v3
	s_addc_u32 s51, s55, s51
	v_xor_b32_e32 v18, v6, v3
	v_addc_co_u32_e32 v16, vcc, v17, v3, vcc
	v_mad_u64_u32 v[6:7], s[0:1], v18, s51, 0
	v_mul_hi_u32 v17, v18, s54
	v_xor_b32_e32 v19, v16, v3
	v_xor_b32_e32 v3, s50, v3
	v_add_co_u32_e32 v20, vcc, v17, v6
	v_addc_co_u32_e32 v21, vcc, 0, v7, vcc
	v_mad_u64_u32 v[6:7], s[0:1], v19, s54, 0
	v_mad_u64_u32 v[16:17], s[0:1], v19, s51, 0
	v_add_co_u32_e32 v6, vcc, v20, v6
	v_addc_co_u32_e32 v6, vcc, v21, v7, vcc
	v_addc_co_u32_e32 v7, vcc, 0, v17, vcc
	v_add_co_u32_e32 v16, vcc, v6, v16
	v_addc_co_u32_e32 v17, vcc, 0, v7, vcc
	v_mul_lo_u32 v20, s53, v16
	v_mul_lo_u32 v21, s52, v17
	v_mad_u64_u32 v[6:7], s[0:1], s52, v16, 0
	v_add3_u32 v7, v7, v21, v20
	v_sub_u32_e32 v20, v19, v7
	v_mov_b32_e32 v21, s53
	v_sub_co_u32_e32 v6, vcc, v18, v6
	v_subb_co_u32_e64 v18, s[0:1], v20, v21, vcc
	v_subrev_co_u32_e64 v20, s[0:1], s52, v6
	v_subbrev_co_u32_e64 v18, s[0:1], 0, v18, s[0:1]
	v_cmp_le_u32_e64 s[0:1], s53, v18
	v_cndmask_b32_e64 v21, 0, -1, s[0:1]
	v_cmp_le_u32_e64 s[0:1], s52, v20
	v_cndmask_b32_e64 v20, 0, -1, s[0:1]
	v_cmp_eq_u32_e64 s[0:1], s53, v18
	v_cndmask_b32_e64 v18, v21, v20, s[0:1]
	v_add_co_u32_e64 v20, s[0:1], 2, v16
	v_subb_co_u32_e32 v7, vcc, v19, v7, vcc
	v_addc_co_u32_e64 v21, s[0:1], 0, v17, s[0:1]
	v_cmp_le_u32_e32 vcc, s53, v7
	v_add_co_u32_e64 v22, s[0:1], 1, v16
	v_cndmask_b32_e64 v19, 0, -1, vcc
	v_cmp_le_u32_e32 vcc, s52, v6
	v_addc_co_u32_e64 v23, s[0:1], 0, v17, s[0:1]
	v_cndmask_b32_e64 v6, 0, -1, vcc
	v_cmp_eq_u32_e32 vcc, s53, v7
	v_cmp_ne_u32_e64 s[0:1], 0, v18
	v_cndmask_b32_e32 v6, v19, v6, vcc
	v_cndmask_b32_e64 v18, v23, v21, s[0:1]
	v_cmp_ne_u32_e32 vcc, 0, v6
	v_cndmask_b32_e64 v7, v22, v20, s[0:1]
	v_cndmask_b32_e32 v6, v17, v18, vcc
	v_cndmask_b32_e32 v7, v16, v7, vcc
	v_xor_b32_e32 v16, v6, v3
	v_xor_b32_e32 v6, v7, v3
	v_sub_co_u32_e32 v6, vcc, v6, v3
	v_subb_co_u32_e32 v7, vcc, v16, v3, vcc
                                        ; implicit-def: $vgpr16
.LBB2_19:                               ;   in Loop: Header=BB2_4 Depth=1
	s_andn2_saveexec_b64 s[0:1], s[4:5]
	s_cbranch_execz .LBB2_21
; %bb.20:                               ;   in Loop: Header=BB2_4 Depth=1
	v_cvt_f32_u32_e32 v3, s26
	s_sub_i32 s4, 0, s26
	v_rcp_iflag_f32_e32 v3, v3
	v_mul_f32_e32 v3, 0x4f7ffffe, v3
	v_cvt_u32_f32_e32 v3, v3
	v_mul_lo_u32 v6, s4, v3
	v_mul_hi_u32 v6, v3, v6
	v_add_u32_e32 v3, v3, v6
	v_mul_hi_u32 v3, v16, v3
	v_mul_lo_u32 v6, v3, s26
	v_add_u32_e32 v7, 1, v3
	v_sub_u32_e32 v6, v16, v6
	v_subrev_u32_e32 v16, s26, v6
	v_cmp_le_u32_e32 vcc, s26, v6
	v_cndmask_b32_e32 v6, v6, v16, vcc
	v_cndmask_b32_e32 v3, v3, v7, vcc
	v_add_u32_e32 v7, 1, v3
	v_cmp_le_u32_e32 vcc, s26, v6
	v_cndmask_b32_e32 v6, v3, v7, vcc
	v_mov_b32_e32 v7, v2
.LBB2_21:                               ;   in Loop: Header=BB2_4 Depth=1
	s_or_b64 exec, exec, s[0:1]
	v_add_co_u32_e32 v6, vcc, 1, v6
	v_addc_co_u32_e32 v7, vcc, 0, v7, vcc
.LBB2_22:                               ;   in Loop: Header=BB2_4 Depth=1
	s_or_b64 exec, exec, s[2:3]
	v_or_b32_e32 v3, s27, v15
	v_cmp_ne_u64_e32 vcc, 0, v[2:3]
                                        ; implicit-def: $vgpr18_vgpr19
	s_and_saveexec_b64 s[0:1], vcc
	s_xor_b64 s[2:3], exec, s[0:1]
	s_cbranch_execz .LBB2_24
; %bb.23:                               ;   in Loop: Header=BB2_4 Depth=1
	s_ashr_i32 s4, s27, 31
	s_add_u32 s0, s26, s4
	s_mov_b32 s5, s4
	s_addc_u32 s1, s27, s4
	s_xor_b64 s[50:51], s[0:1], s[4:5]
	v_cvt_f32_u32_e32 v3, s50
	v_cvt_f32_u32_e32 v16, s51
	s_sub_u32 s5, 0, s50
	s_subb_u32 s52, 0, s51
	v_mac_f32_e32 v3, 0x4f800000, v16
	v_rcp_f32_e32 v3, v3
	v_mul_f32_e32 v3, 0x5f7ffffc, v3
	v_mul_f32_e32 v16, 0x2f800000, v3
	v_trunc_f32_e32 v16, v16
	v_mac_f32_e32 v3, 0xcf800000, v16
	v_cvt_u32_f32_e32 v16, v16
	v_cvt_u32_f32_e32 v3, v3
	v_readfirstlane_b32 s53, v16
	v_readfirstlane_b32 s0, v3
	s_mul_i32 s1, s5, s53
	s_mul_hi_u32 s55, s5, s0
	s_mul_i32 s54, s52, s0
	s_add_i32 s1, s55, s1
	s_add_i32 s1, s1, s54
	s_mul_i32 s56, s5, s0
	s_mul_i32 s55, s0, s1
	s_mul_hi_u32 s57, s0, s56
	s_mul_hi_u32 s54, s0, s1
	s_add_u32 s55, s57, s55
	s_addc_u32 s54, 0, s54
	s_mul_hi_u32 s58, s53, s56
	s_mul_i32 s56, s53, s56
	s_add_u32 s55, s55, s56
	s_mul_hi_u32 s57, s53, s1
	s_addc_u32 s54, s54, s58
	s_addc_u32 s55, s57, 0
	s_mul_i32 s1, s53, s1
	s_add_u32 s1, s54, s1
	s_addc_u32 s54, 0, s55
	s_add_u32 s55, s0, s1
	s_cselect_b64 s[0:1], -1, 0
	s_cmp_lg_u64 s[0:1], 0
	s_addc_u32 s53, s53, s54
	s_mul_i32 s0, s5, s53
	s_mul_hi_u32 s1, s5, s55
	s_add_i32 s0, s1, s0
	s_mul_i32 s52, s52, s55
	s_add_i32 s0, s0, s52
	s_mul_i32 s5, s5, s55
	s_mul_hi_u32 s52, s53, s5
	s_mul_i32 s54, s53, s5
	s_mul_i32 s57, s55, s0
	s_mul_hi_u32 s5, s55, s5
	s_mul_hi_u32 s56, s55, s0
	s_add_u32 s5, s5, s57
	s_addc_u32 s56, 0, s56
	s_add_u32 s5, s5, s54
	s_mul_hi_u32 s1, s53, s0
	s_addc_u32 s5, s56, s52
	s_addc_u32 s1, s1, 0
	s_mul_i32 s0, s53, s0
	s_add_u32 s0, s5, s0
	s_addc_u32 s5, 0, s1
	s_add_u32 s52, s55, s0
	s_cselect_b64 s[0:1], -1, 0
	v_ashrrev_i32_e32 v3, 31, v15
	s_cmp_lg_u64 s[0:1], 0
	v_add_co_u32_e32 v14, vcc, v14, v3
	s_addc_u32 s5, s53, s5
	v_xor_b32_e32 v18, v14, v3
	v_addc_co_u32_e32 v16, vcc, v15, v3, vcc
	v_mad_u64_u32 v[14:15], s[0:1], v18, s5, 0
	v_mul_hi_u32 v17, v18, s52
	v_xor_b32_e32 v19, v16, v3
	v_xor_b32_e32 v3, s4, v3
	v_add_co_u32_e32 v20, vcc, v17, v14
	v_addc_co_u32_e32 v21, vcc, 0, v15, vcc
	v_mad_u64_u32 v[14:15], s[0:1], v19, s52, 0
	v_mad_u64_u32 v[16:17], s[0:1], v19, s5, 0
	v_add_co_u32_e32 v14, vcc, v20, v14
	v_addc_co_u32_e32 v14, vcc, v21, v15, vcc
	v_addc_co_u32_e32 v15, vcc, 0, v17, vcc
	v_add_co_u32_e32 v16, vcc, v14, v16
	v_addc_co_u32_e32 v17, vcc, 0, v15, vcc
	v_mul_lo_u32 v20, s51, v16
	v_mul_lo_u32 v21, s50, v17
	v_mad_u64_u32 v[14:15], s[0:1], s50, v16, 0
	v_add3_u32 v15, v15, v21, v20
	v_sub_u32_e32 v20, v19, v15
	v_mov_b32_e32 v21, s51
	v_sub_co_u32_e32 v14, vcc, v18, v14
	v_subb_co_u32_e64 v18, s[0:1], v20, v21, vcc
	v_subrev_co_u32_e64 v20, s[0:1], s50, v14
	v_subbrev_co_u32_e64 v18, s[0:1], 0, v18, s[0:1]
	v_cmp_le_u32_e64 s[0:1], s51, v18
	v_cndmask_b32_e64 v21, 0, -1, s[0:1]
	v_cmp_le_u32_e64 s[0:1], s50, v20
	v_cndmask_b32_e64 v20, 0, -1, s[0:1]
	v_cmp_eq_u32_e64 s[0:1], s51, v18
	v_cndmask_b32_e64 v18, v21, v20, s[0:1]
	v_add_co_u32_e64 v20, s[0:1], 2, v16
	v_subb_co_u32_e32 v15, vcc, v19, v15, vcc
	v_addc_co_u32_e64 v21, s[0:1], 0, v17, s[0:1]
	v_cmp_le_u32_e32 vcc, s51, v15
	v_add_co_u32_e64 v22, s[0:1], 1, v16
	v_cndmask_b32_e64 v19, 0, -1, vcc
	v_cmp_le_u32_e32 vcc, s50, v14
	v_addc_co_u32_e64 v23, s[0:1], 0, v17, s[0:1]
	v_cndmask_b32_e64 v14, 0, -1, vcc
	v_cmp_eq_u32_e32 vcc, s51, v15
	v_cmp_ne_u32_e64 s[0:1], 0, v18
	v_cndmask_b32_e32 v14, v19, v14, vcc
	v_cmp_ne_u32_e32 vcc, 0, v14
	v_cndmask_b32_e64 v15, v22, v20, s[0:1]
	v_cndmask_b32_e64 v18, v23, v21, s[0:1]
	v_cndmask_b32_e32 v15, v16, v15, vcc
	v_cndmask_b32_e32 v14, v17, v18, vcc
	v_xor_b32_e32 v15, v15, v3
	v_xor_b32_e32 v14, v14, v3
	v_sub_co_u32_e32 v18, vcc, v15, v3
	v_subb_co_u32_e32 v19, vcc, v14, v3, vcc
                                        ; implicit-def: $vgpr14
.LBB2_24:                               ;   in Loop: Header=BB2_4 Depth=1
	s_andn2_saveexec_b64 s[0:1], s[2:3]
	s_cbranch_execz .LBB2_26
; %bb.25:                               ;   in Loop: Header=BB2_4 Depth=1
	v_cvt_f32_u32_e32 v3, s26
	s_sub_i32 s2, 0, s26
	v_mov_b32_e32 v19, v2
	v_rcp_iflag_f32_e32 v3, v3
	v_mul_f32_e32 v3, 0x4f7ffffe, v3
	v_cvt_u32_f32_e32 v3, v3
	v_mul_lo_u32 v15, s2, v3
	v_mul_hi_u32 v15, v3, v15
	v_add_u32_e32 v3, v3, v15
	v_mul_hi_u32 v3, v14, v3
	v_mul_lo_u32 v15, v3, s26
	v_add_u32_e32 v16, 1, v3
	v_sub_u32_e32 v14, v14, v15
	v_subrev_u32_e32 v15, s26, v14
	v_cmp_le_u32_e32 vcc, s26, v14
	v_cndmask_b32_e32 v14, v14, v15, vcc
	v_cndmask_b32_e32 v3, v3, v16, vcc
	v_add_u32_e32 v15, 1, v3
	v_cmp_le_u32_e32 vcc, s26, v14
	v_cndmask_b32_e32 v18, v3, v15, vcc
.LBB2_26:                               ;   in Loop: Header=BB2_4 Depth=1
	s_or_b64 exec, exec, s[0:1]
	v_mov_b32_e32 v3, s21
	v_add_co_u32_e32 v8, vcc, s20, v8
	v_addc_co_u32_e32 v9, vcc, v9, v3, vcc
	v_cmp_lt_i64_e32 vcc, s[34:35], v[8:9]
	v_mov_b32_e32 v14, 0
	v_mov_b32_e32 v15, 0
	s_and_saveexec_b64 s[2:3], vcc
	s_cbranch_execz .LBB2_32
; %bb.27:                               ;   in Loop: Header=BB2_4 Depth=1
	v_mov_b32_e32 v3, s43
	v_add_co_u32_e32 v16, vcc, s42, v8
	v_addc_co_u32_e32 v17, vcc, v9, v3, vcc
	v_or_b32_e32 v3, s25, v17
	v_cmp_ne_u64_e32 vcc, 0, v[2:3]
                                        ; implicit-def: $vgpr14_vgpr15
	s_and_saveexec_b64 s[0:1], vcc
	s_xor_b64 s[4:5], exec, s[0:1]
	s_cbranch_execz .LBB2_29
; %bb.28:                               ;   in Loop: Header=BB2_4 Depth=1
	s_ashr_i32 s50, s25, 31
	s_add_u32 s0, s24, s50
	s_mov_b32 s51, s50
	s_addc_u32 s1, s25, s50
	s_xor_b64 s[52:53], s[0:1], s[50:51]
	v_cvt_f32_u32_e32 v3, s52
	v_cvt_f32_u32_e32 v14, s53
	s_sub_u32 s51, 0, s52
	s_subb_u32 s54, 0, s53
	v_mac_f32_e32 v3, 0x4f800000, v14
	v_rcp_f32_e32 v3, v3
	v_mul_f32_e32 v3, 0x5f7ffffc, v3
	v_mul_f32_e32 v14, 0x2f800000, v3
	v_trunc_f32_e32 v14, v14
	v_mac_f32_e32 v3, 0xcf800000, v14
	v_cvt_u32_f32_e32 v14, v14
	v_cvt_u32_f32_e32 v3, v3
	v_readfirstlane_b32 s55, v14
	v_readfirstlane_b32 s0, v3
	s_mul_i32 s1, s51, s55
	s_mul_hi_u32 s57, s51, s0
	s_mul_i32 s56, s54, s0
	s_add_i32 s1, s57, s1
	s_add_i32 s1, s1, s56
	s_mul_i32 s58, s51, s0
	s_mul_i32 s57, s0, s1
	s_mul_hi_u32 s59, s0, s58
	s_mul_hi_u32 s56, s0, s1
	s_add_u32 s57, s59, s57
	s_addc_u32 s56, 0, s56
	s_mul_hi_u32 s60, s55, s58
	s_mul_i32 s58, s55, s58
	s_add_u32 s57, s57, s58
	s_mul_hi_u32 s59, s55, s1
	s_addc_u32 s56, s56, s60
	s_addc_u32 s57, s59, 0
	s_mul_i32 s1, s55, s1
	s_add_u32 s1, s56, s1
	s_addc_u32 s56, 0, s57
	s_add_u32 s57, s0, s1
	s_cselect_b64 s[0:1], -1, 0
	s_cmp_lg_u64 s[0:1], 0
	s_addc_u32 s55, s55, s56
	s_mul_i32 s0, s51, s55
	s_mul_hi_u32 s1, s51, s57
	s_add_i32 s0, s1, s0
	s_mul_i32 s54, s54, s57
	s_add_i32 s0, s0, s54
	s_mul_i32 s51, s51, s57
	s_mul_hi_u32 s54, s55, s51
	s_mul_i32 s56, s55, s51
	s_mul_i32 s59, s57, s0
	s_mul_hi_u32 s51, s57, s51
	s_mul_hi_u32 s58, s57, s0
	s_add_u32 s51, s51, s59
	s_addc_u32 s58, 0, s58
	s_add_u32 s51, s51, s56
	s_mul_hi_u32 s1, s55, s0
	s_addc_u32 s51, s58, s54
	s_addc_u32 s1, s1, 0
	s_mul_i32 s0, s55, s0
	s_add_u32 s0, s51, s0
	s_addc_u32 s51, 0, s1
	s_add_u32 s54, s57, s0
	s_cselect_b64 s[0:1], -1, 0
	v_ashrrev_i32_e32 v3, 31, v17
	s_cmp_lg_u64 s[0:1], 0
	v_add_co_u32_e32 v14, vcc, v16, v3
	s_addc_u32 s51, s55, s51
	v_xor_b32_e32 v20, v14, v3
	v_addc_co_u32_e32 v16, vcc, v17, v3, vcc
	v_mad_u64_u32 v[14:15], s[0:1], v20, s51, 0
	v_mul_hi_u32 v17, v20, s54
	v_xor_b32_e32 v21, v16, v3
	v_xor_b32_e32 v3, s50, v3
	v_add_co_u32_e32 v22, vcc, v17, v14
	v_addc_co_u32_e32 v23, vcc, 0, v15, vcc
	v_mad_u64_u32 v[14:15], s[0:1], v21, s54, 0
	v_mad_u64_u32 v[16:17], s[0:1], v21, s51, 0
	v_add_co_u32_e32 v14, vcc, v22, v14
	v_addc_co_u32_e32 v14, vcc, v23, v15, vcc
	v_addc_co_u32_e32 v15, vcc, 0, v17, vcc
	v_add_co_u32_e32 v16, vcc, v14, v16
	v_addc_co_u32_e32 v17, vcc, 0, v15, vcc
	v_mul_lo_u32 v22, s53, v16
	v_mul_lo_u32 v23, s52, v17
	v_mad_u64_u32 v[14:15], s[0:1], s52, v16, 0
	v_add3_u32 v15, v15, v23, v22
	v_sub_u32_e32 v22, v21, v15
	v_mov_b32_e32 v23, s53
	v_sub_co_u32_e32 v14, vcc, v20, v14
	v_subb_co_u32_e64 v20, s[0:1], v22, v23, vcc
	v_subrev_co_u32_e64 v22, s[0:1], s52, v14
	v_subbrev_co_u32_e64 v20, s[0:1], 0, v20, s[0:1]
	v_cmp_le_u32_e64 s[0:1], s53, v20
	v_cndmask_b32_e64 v23, 0, -1, s[0:1]
	v_cmp_le_u32_e64 s[0:1], s52, v22
	v_cndmask_b32_e64 v22, 0, -1, s[0:1]
	v_cmp_eq_u32_e64 s[0:1], s53, v20
	v_cndmask_b32_e64 v20, v23, v22, s[0:1]
	v_add_co_u32_e64 v22, s[0:1], 2, v16
	v_subb_co_u32_e32 v15, vcc, v21, v15, vcc
	v_addc_co_u32_e64 v23, s[0:1], 0, v17, s[0:1]
	v_cmp_le_u32_e32 vcc, s53, v15
	v_add_co_u32_e64 v24, s[0:1], 1, v16
	v_cndmask_b32_e64 v21, 0, -1, vcc
	v_cmp_le_u32_e32 vcc, s52, v14
	v_addc_co_u32_e64 v25, s[0:1], 0, v17, s[0:1]
	v_cndmask_b32_e64 v14, 0, -1, vcc
	v_cmp_eq_u32_e32 vcc, s53, v15
	v_cmp_ne_u32_e64 s[0:1], 0, v20
	v_cndmask_b32_e32 v14, v21, v14, vcc
	v_cndmask_b32_e64 v20, v25, v23, s[0:1]
	v_cmp_ne_u32_e32 vcc, 0, v14
	v_cndmask_b32_e64 v15, v24, v22, s[0:1]
	v_cndmask_b32_e32 v14, v17, v20, vcc
	v_cndmask_b32_e32 v15, v16, v15, vcc
	v_xor_b32_e32 v16, v14, v3
	v_xor_b32_e32 v14, v15, v3
	v_sub_co_u32_e32 v14, vcc, v14, v3
	v_subb_co_u32_e32 v15, vcc, v16, v3, vcc
                                        ; implicit-def: $vgpr16
.LBB2_29:                               ;   in Loop: Header=BB2_4 Depth=1
	s_andn2_saveexec_b64 s[0:1], s[4:5]
	s_cbranch_execz .LBB2_31
; %bb.30:                               ;   in Loop: Header=BB2_4 Depth=1
	v_cvt_f32_u32_e32 v3, s24
	s_sub_i32 s4, 0, s24
	v_rcp_iflag_f32_e32 v3, v3
	v_mul_f32_e32 v3, 0x4f7ffffe, v3
	v_cvt_u32_f32_e32 v3, v3
	v_mul_lo_u32 v14, s4, v3
	v_mul_hi_u32 v14, v3, v14
	v_add_u32_e32 v3, v3, v14
	v_mul_hi_u32 v3, v16, v3
	v_mul_lo_u32 v14, v3, s24
	v_add_u32_e32 v15, 1, v3
	v_sub_u32_e32 v14, v16, v14
	v_subrev_u32_e32 v16, s24, v14
	v_cmp_le_u32_e32 vcc, s24, v14
	v_cndmask_b32_e32 v14, v14, v16, vcc
	v_cndmask_b32_e32 v3, v3, v15, vcc
	v_add_u32_e32 v15, 1, v3
	v_cmp_le_u32_e32 vcc, s24, v14
	v_cndmask_b32_e32 v14, v3, v15, vcc
	v_mov_b32_e32 v15, v2
.LBB2_31:                               ;   in Loop: Header=BB2_4 Depth=1
	s_or_b64 exec, exec, s[0:1]
	v_add_co_u32_e32 v14, vcc, 1, v14
	v_addc_co_u32_e32 v15, vcc, 0, v15, vcc
.LBB2_32:                               ;   in Loop: Header=BB2_4 Depth=1
	s_or_b64 exec, exec, s[2:3]
	v_or_b32_e32 v3, s25, v9
	v_cmp_ne_u64_e32 vcc, 0, v[2:3]
                                        ; implicit-def: $vgpr16_vgpr17
	s_and_saveexec_b64 s[0:1], vcc
	s_xor_b64 s[2:3], exec, s[0:1]
	s_cbranch_execz .LBB2_34
; %bb.33:                               ;   in Loop: Header=BB2_4 Depth=1
	s_ashr_i32 s4, s25, 31
	s_add_u32 s0, s24, s4
	s_mov_b32 s5, s4
	s_addc_u32 s1, s25, s4
	s_xor_b64 s[50:51], s[0:1], s[4:5]
	v_cvt_f32_u32_e32 v3, s50
	v_cvt_f32_u32_e32 v16, s51
	s_sub_u32 s5, 0, s50
	s_subb_u32 s52, 0, s51
	v_mac_f32_e32 v3, 0x4f800000, v16
	v_rcp_f32_e32 v3, v3
	v_mul_f32_e32 v3, 0x5f7ffffc, v3
	v_mul_f32_e32 v16, 0x2f800000, v3
	v_trunc_f32_e32 v16, v16
	v_mac_f32_e32 v3, 0xcf800000, v16
	v_cvt_u32_f32_e32 v16, v16
	v_cvt_u32_f32_e32 v3, v3
	v_readfirstlane_b32 s53, v16
	v_readfirstlane_b32 s0, v3
	s_mul_i32 s1, s5, s53
	s_mul_hi_u32 s55, s5, s0
	s_mul_i32 s54, s52, s0
	s_add_i32 s1, s55, s1
	s_add_i32 s1, s1, s54
	s_mul_i32 s56, s5, s0
	s_mul_i32 s55, s0, s1
	s_mul_hi_u32 s57, s0, s56
	s_mul_hi_u32 s54, s0, s1
	s_add_u32 s55, s57, s55
	s_addc_u32 s54, 0, s54
	s_mul_hi_u32 s58, s53, s56
	s_mul_i32 s56, s53, s56
	s_add_u32 s55, s55, s56
	s_mul_hi_u32 s57, s53, s1
	s_addc_u32 s54, s54, s58
	s_addc_u32 s55, s57, 0
	s_mul_i32 s1, s53, s1
	s_add_u32 s1, s54, s1
	s_addc_u32 s54, 0, s55
	s_add_u32 s55, s0, s1
	s_cselect_b64 s[0:1], -1, 0
	s_cmp_lg_u64 s[0:1], 0
	s_addc_u32 s53, s53, s54
	s_mul_i32 s0, s5, s53
	s_mul_hi_u32 s1, s5, s55
	s_add_i32 s0, s1, s0
	s_mul_i32 s52, s52, s55
	s_add_i32 s0, s0, s52
	s_mul_i32 s5, s5, s55
	s_mul_hi_u32 s52, s53, s5
	s_mul_i32 s54, s53, s5
	s_mul_i32 s57, s55, s0
	s_mul_hi_u32 s5, s55, s5
	s_mul_hi_u32 s56, s55, s0
	s_add_u32 s5, s5, s57
	s_addc_u32 s56, 0, s56
	s_add_u32 s5, s5, s54
	s_mul_hi_u32 s1, s53, s0
	s_addc_u32 s5, s56, s52
	s_addc_u32 s1, s1, 0
	s_mul_i32 s0, s53, s0
	s_add_u32 s0, s5, s0
	s_addc_u32 s5, 0, s1
	s_add_u32 s52, s55, s0
	s_cselect_b64 s[0:1], -1, 0
	v_ashrrev_i32_e32 v3, 31, v9
	s_cmp_lg_u64 s[0:1], 0
	v_add_co_u32_e32 v16, vcc, v8, v3
	s_addc_u32 s5, s53, s5
	v_xor_b32_e32 v22, v16, v3
	v_mad_u64_u32 v[16:17], s[0:1], v22, s5, 0
	v_mul_hi_u32 v21, v22, s52
	v_addc_co_u32_e32 v20, vcc, v9, v3, vcc
	v_xor_b32_e32 v23, v20, v3
	v_add_co_u32_e32 v24, vcc, v21, v16
	v_addc_co_u32_e32 v25, vcc, 0, v17, vcc
	v_mad_u64_u32 v[16:17], s[0:1], v23, s52, 0
	v_mad_u64_u32 v[20:21], s[0:1], v23, s5, 0
	v_add_co_u32_e32 v16, vcc, v24, v16
	v_addc_co_u32_e32 v16, vcc, v25, v17, vcc
	v_addc_co_u32_e32 v17, vcc, 0, v21, vcc
	v_add_co_u32_e32 v20, vcc, v16, v20
	v_addc_co_u32_e32 v21, vcc, 0, v17, vcc
	v_mul_lo_u32 v24, s51, v20
	v_mul_lo_u32 v25, s50, v21
	v_mad_u64_u32 v[16:17], s[0:1], s50, v20, 0
	v_xor_b32_e32 v3, s4, v3
	v_add3_u32 v17, v17, v25, v24
	v_sub_u32_e32 v24, v23, v17
	v_mov_b32_e32 v25, s51
	v_sub_co_u32_e32 v16, vcc, v22, v16
	v_subb_co_u32_e64 v22, s[0:1], v24, v25, vcc
	v_subrev_co_u32_e64 v24, s[0:1], s50, v16
	v_subbrev_co_u32_e64 v22, s[0:1], 0, v22, s[0:1]
	v_cmp_le_u32_e64 s[0:1], s51, v22
	v_cndmask_b32_e64 v25, 0, -1, s[0:1]
	v_cmp_le_u32_e64 s[0:1], s50, v24
	v_cndmask_b32_e64 v24, 0, -1, s[0:1]
	v_cmp_eq_u32_e64 s[0:1], s51, v22
	v_cndmask_b32_e64 v22, v25, v24, s[0:1]
	v_add_co_u32_e64 v24, s[0:1], 2, v20
	v_subb_co_u32_e32 v17, vcc, v23, v17, vcc
	v_addc_co_u32_e64 v25, s[0:1], 0, v21, s[0:1]
	v_cmp_le_u32_e32 vcc, s51, v17
	v_add_co_u32_e64 v26, s[0:1], 1, v20
	v_cndmask_b32_e64 v23, 0, -1, vcc
	v_cmp_le_u32_e32 vcc, s50, v16
	v_addc_co_u32_e64 v27, s[0:1], 0, v21, s[0:1]
	v_cndmask_b32_e64 v16, 0, -1, vcc
	v_cmp_eq_u32_e32 vcc, s51, v17
	v_cmp_ne_u32_e64 s[0:1], 0, v22
	v_cndmask_b32_e32 v16, v23, v16, vcc
	v_cndmask_b32_e64 v22, v27, v25, s[0:1]
	v_cmp_ne_u32_e32 vcc, 0, v16
	v_cndmask_b32_e64 v17, v26, v24, s[0:1]
	v_cndmask_b32_e32 v16, v21, v22, vcc
	v_cndmask_b32_e32 v17, v20, v17, vcc
	v_xor_b32_e32 v20, v16, v3
	v_xor_b32_e32 v16, v17, v3
	v_sub_co_u32_e32 v16, vcc, v16, v3
	v_subb_co_u32_e32 v17, vcc, v20, v3, vcc
.LBB2_34:                               ;   in Loop: Header=BB2_4 Depth=1
	s_andn2_saveexec_b64 s[0:1], s[2:3]
	s_cbranch_execz .LBB2_36
; %bb.35:                               ;   in Loop: Header=BB2_4 Depth=1
	v_cvt_f32_u32_e32 v3, s24
	s_sub_i32 s2, 0, s24
	v_rcp_iflag_f32_e32 v3, v3
	v_mul_f32_e32 v3, 0x4f7ffffe, v3
	v_cvt_u32_f32_e32 v3, v3
	v_mul_lo_u32 v16, s2, v3
	v_mul_hi_u32 v16, v3, v16
	v_add_u32_e32 v3, v3, v16
	v_mul_hi_u32 v3, v8, v3
	v_mul_lo_u32 v16, v3, s24
	v_add_u32_e32 v17, 1, v3
	v_sub_u32_e32 v16, v8, v16
	v_subrev_u32_e32 v20, s24, v16
	v_cmp_le_u32_e32 vcc, s24, v16
	v_cndmask_b32_e32 v16, v16, v20, vcc
	v_cndmask_b32_e32 v3, v3, v17, vcc
	v_add_u32_e32 v17, 1, v3
	v_cmp_le_u32_e32 vcc, s24, v16
	v_cndmask_b32_e32 v16, v3, v17, vcc
	v_mov_b32_e32 v17, v2
.LBB2_36:                               ;   in Loop: Header=BB2_4 Depth=1
	s_or_b64 exec, exec, s[0:1]
	v_add_co_u32_e32 v16, vcc, 1, v16
	v_addc_co_u32_e32 v17, vcc, 0, v17, vcc
	v_cmp_gt_i64_e32 vcc, s[36:37], v[16:17]
	v_mov_b32_e32 v3, s37
	v_cndmask_b32_e32 v17, v3, v17, vcc
	v_mov_b32_e32 v3, s36
	v_cndmask_b32_e32 v16, v3, v16, vcc
	v_cmp_lt_i64_e32 vcc, v[14:15], v[16:17]
	v_mov_b32_e32 v3, 0
	s_and_saveexec_b64 s[50:51], vcc
	s_cbranch_execz .LBB2_3
; %bb.37:                               ;   in Loop: Header=BB2_4 Depth=1
	v_add_co_u32_e32 v18, vcc, 1, v18
	v_addc_co_u32_e32 v19, vcc, 0, v19, vcc
	v_cmp_gt_i64_e32 vcc, s[38:39], v[18:19]
	v_mov_b32_e32 v3, s39
	v_cndmask_b32_e32 v19, v3, v19, vcc
	v_mul_lo_u32 v3, v11, s16
	v_mul_lo_u32 v20, v10, s17
	v_mad_u64_u32 v[10:11], s[0:1], v10, s16, 0
	v_mov_b32_e32 v21, s38
	v_cndmask_b32_e32 v18, v21, v18, vcc
	v_add3_u32 v11, v11, v20, v3
	v_lshlrev_b64 v[20:21], 1, v[6:7]
	v_mov_b32_e32 v3, s11
	v_add_co_u32_e32 v20, vcc, s10, v20
	v_mul_lo_u32 v24, s27, v6
	v_mul_lo_u32 v25, s26, v7
	v_mad_u64_u32 v[22:23], s[2:3], s26, v6, 0
	v_addc_co_u32_e32 v21, vcc, v3, v21, vcc
	v_mov_b32_e32 v3, s23
	v_add_co_u32_e32 v26, vcc, s22, v4
	v_addc_co_u32_e32 v3, vcc, v3, v5, vcc
	v_add3_u32 v23, v23, v25, v24
	v_sub_co_u32_e32 v22, vcc, v26, v22
	v_subb_co_u32_e32 v3, vcc, v3, v23, vcc
	v_cmp_lt_i64_e64 s[0:1], v[6:7], v[18:19]
	v_sub_co_u32_e32 v12, vcc, v22, v12
	v_subb_co_u32_e32 v13, vcc, v3, v13, vcc
	v_mov_b32_e32 v32, 0
	s_mov_b64 s[52:53], 0
	s_branch .LBB2_40
.LBB2_38:                               ;   in Loop: Header=BB2_40 Depth=2
	s_or_b64 exec, exec, s[56:57]
.LBB2_39:                               ;   in Loop: Header=BB2_40 Depth=2
	s_or_b64 exec, exec, s[54:55]
	v_add_co_u32_e32 v14, vcc, 1, v14
	v_addc_co_u32_e32 v15, vcc, 0, v15, vcc
	v_cmp_ge_i64_e32 vcc, v[14:15], v[16:17]
	s_or_b64 s[52:53], vcc, s[52:53]
	s_andn2_b64 exec, exec, s[52:53]
	s_cbranch_execz .LBB2_2
.LBB2_40:                               ;   Parent Loop BB2_4 Depth=1
                                        ; =>  This Loop Header: Depth=2
                                        ;       Child Loop BB2_48 Depth 3
	s_and_saveexec_b64 s[54:55], s[0:1]
	s_cbranch_execz .LBB2_39
; %bb.41:                               ;   in Loop: Header=BB2_40 Depth=2
	v_mul_lo_u32 v3, v15, s24
	v_mul_lo_u32 v24, v14, s25
	v_mad_u64_u32 v[22:23], s[2:3], v14, s24, 0
	v_add3_u32 v3, v23, v24, v3
	v_sub_co_u32_e32 v24, vcc, v8, v22
	v_subb_co_u32_e32 v25, vcc, v9, v3, vcc
	v_or_b32_e32 v3, s29, v25
	v_cmp_ne_u64_e32 vcc, 0, v[2:3]
                                        ; implicit-def: $vgpr22_vgpr23
	s_and_saveexec_b64 s[2:3], vcc
	s_xor_b64 s[4:5], exec, s[2:3]
	s_cbranch_execz .LBB2_43
; %bb.42:                               ;   in Loop: Header=BB2_40 Depth=2
	s_ashr_i32 s56, s29, 31
	s_add_u32 s2, s28, s56
	s_mov_b32 s57, s56
	s_addc_u32 s3, s29, s56
	s_xor_b64 s[58:59], s[2:3], s[56:57]
	v_cvt_f32_u32_e32 v3, s58
	v_cvt_f32_u32_e32 v22, s59
	s_sub_u32 s57, 0, s58
	s_subb_u32 s60, 0, s59
	v_mac_f32_e32 v3, 0x4f800000, v22
	v_rcp_f32_e32 v3, v3
	v_mul_f32_e32 v3, 0x5f7ffffc, v3
	v_mul_f32_e32 v22, 0x2f800000, v3
	v_trunc_f32_e32 v22, v22
	v_mac_f32_e32 v3, 0xcf800000, v22
	v_cvt_u32_f32_e32 v22, v22
	v_cvt_u32_f32_e32 v3, v3
	v_readfirstlane_b32 s61, v22
	v_readfirstlane_b32 s2, v3
	s_mul_i32 s3, s57, s61
	s_mul_hi_u32 s63, s57, s2
	s_mul_i32 s62, s60, s2
	s_add_i32 s3, s63, s3
	s_add_i32 s3, s3, s62
	s_mul_i32 s64, s57, s2
	s_mul_i32 s63, s2, s3
	s_mul_hi_u32 s65, s2, s64
	s_mul_hi_u32 s62, s2, s3
	s_add_u32 s63, s65, s63
	s_addc_u32 s62, 0, s62
	s_mul_hi_u32 s68, s61, s64
	s_mul_i32 s64, s61, s64
	s_add_u32 s63, s63, s64
	s_mul_hi_u32 s65, s61, s3
	s_addc_u32 s62, s62, s68
	s_addc_u32 s63, s65, 0
	s_mul_i32 s3, s61, s3
	s_add_u32 s3, s62, s3
	s_addc_u32 s62, 0, s63
	s_add_u32 s63, s2, s3
	s_cselect_b64 s[2:3], -1, 0
	s_cmp_lg_u64 s[2:3], 0
	s_addc_u32 s61, s61, s62
	s_mul_i32 s2, s57, s61
	s_mul_hi_u32 s3, s57, s63
	s_add_i32 s2, s3, s2
	s_mul_i32 s60, s60, s63
	s_add_i32 s2, s2, s60
	s_mul_i32 s57, s57, s63
	s_mul_hi_u32 s60, s61, s57
	s_mul_i32 s62, s61, s57
	s_mul_i32 s65, s63, s2
	s_mul_hi_u32 s57, s63, s57
	s_mul_hi_u32 s64, s63, s2
	s_add_u32 s57, s57, s65
	s_addc_u32 s64, 0, s64
	s_add_u32 s57, s57, s62
	s_mul_hi_u32 s3, s61, s2
	s_addc_u32 s57, s64, s60
	s_addc_u32 s3, s3, 0
	s_mul_i32 s2, s61, s2
	s_add_u32 s2, s57, s2
	s_addc_u32 s57, 0, s3
	s_add_u32 s60, s63, s2
	s_cselect_b64 s[2:3], -1, 0
	v_ashrrev_i32_e32 v3, 31, v25
	s_cmp_lg_u64 s[2:3], 0
	v_add_co_u32_e32 v22, vcc, v24, v3
	s_addc_u32 s57, s61, s57
	v_xor_b32_e32 v28, v22, v3
	v_mad_u64_u32 v[22:23], s[2:3], v28, s57, 0
	v_mul_hi_u32 v27, v28, s60
	v_addc_co_u32_e32 v26, vcc, v25, v3, vcc
	v_xor_b32_e32 v29, v26, v3
	v_add_co_u32_e32 v30, vcc, v27, v22
	v_addc_co_u32_e32 v31, vcc, 0, v23, vcc
	v_mad_u64_u32 v[22:23], s[2:3], v29, s60, 0
	v_mad_u64_u32 v[26:27], s[2:3], v29, s57, 0
	v_add_co_u32_e32 v22, vcc, v30, v22
	v_addc_co_u32_e32 v22, vcc, v31, v23, vcc
	v_addc_co_u32_e32 v23, vcc, 0, v27, vcc
	v_add_co_u32_e32 v26, vcc, v22, v26
	v_addc_co_u32_e32 v27, vcc, 0, v23, vcc
	v_mul_lo_u32 v30, s59, v26
	v_mul_lo_u32 v31, s58, v27
	v_mad_u64_u32 v[22:23], s[2:3], s58, v26, 0
	v_xor_b32_e32 v3, s56, v3
	v_add3_u32 v23, v23, v31, v30
	v_sub_u32_e32 v30, v29, v23
	v_mov_b32_e32 v31, s59
	v_sub_co_u32_e32 v22, vcc, v28, v22
	v_subb_co_u32_e64 v28, s[2:3], v30, v31, vcc
	v_subrev_co_u32_e64 v30, s[2:3], s58, v22
	v_subbrev_co_u32_e64 v28, s[2:3], 0, v28, s[2:3]
	v_cmp_le_u32_e64 s[2:3], s59, v28
	v_cndmask_b32_e64 v31, 0, -1, s[2:3]
	v_cmp_le_u32_e64 s[2:3], s58, v30
	v_cndmask_b32_e64 v30, 0, -1, s[2:3]
	v_cmp_eq_u32_e64 s[2:3], s59, v28
	v_cndmask_b32_e64 v28, v31, v30, s[2:3]
	v_add_co_u32_e64 v30, s[2:3], 2, v26
	v_subb_co_u32_e32 v23, vcc, v29, v23, vcc
	v_addc_co_u32_e64 v31, s[2:3], 0, v27, s[2:3]
	v_cmp_le_u32_e32 vcc, s59, v23
	v_add_co_u32_e64 v33, s[2:3], 1, v26
	v_cndmask_b32_e64 v29, 0, -1, vcc
	v_cmp_le_u32_e32 vcc, s58, v22
	v_addc_co_u32_e64 v34, s[2:3], 0, v27, s[2:3]
	v_cndmask_b32_e64 v22, 0, -1, vcc
	v_cmp_eq_u32_e32 vcc, s59, v23
	v_cmp_ne_u32_e64 s[2:3], 0, v28
	v_cndmask_b32_e32 v22, v29, v22, vcc
	v_cndmask_b32_e64 v28, v34, v31, s[2:3]
	v_cmp_ne_u32_e32 vcc, 0, v22
	v_cndmask_b32_e64 v23, v33, v30, s[2:3]
	v_cndmask_b32_e32 v22, v27, v28, vcc
	v_cndmask_b32_e32 v23, v26, v23, vcc
	v_xor_b32_e32 v26, v22, v3
	v_xor_b32_e32 v22, v23, v3
	v_sub_co_u32_e32 v22, vcc, v22, v3
	v_subb_co_u32_e32 v23, vcc, v26, v3, vcc
.LBB2_43:                               ;   in Loop: Header=BB2_40 Depth=2
	s_andn2_saveexec_b64 s[4:5], s[4:5]
	s_cbranch_execz .LBB2_45
; %bb.44:                               ;   in Loop: Header=BB2_40 Depth=2
	v_cvt_f32_u32_e32 v3, s28
	s_sub_i32 s2, 0, s28
	v_rcp_iflag_f32_e32 v3, v3
	v_mul_f32_e32 v3, 0x4f7ffffe, v3
	v_cvt_u32_f32_e32 v3, v3
	v_mul_lo_u32 v22, s2, v3
	v_mul_hi_u32 v22, v3, v22
	v_add_u32_e32 v3, v3, v22
	v_mul_hi_u32 v3, v24, v3
	v_mul_lo_u32 v22, v3, s28
	v_sub_u32_e32 v22, v24, v22
	v_cmp_le_u32_e32 vcc, s28, v22
	v_subrev_u32_e32 v23, s28, v22
	v_cndmask_b32_e32 v22, v22, v23, vcc
	v_cmp_le_u32_e64 s[2:3], s28, v22
	v_add_u32_e32 v22, 1, v3
	v_cndmask_b32_e32 v3, v3, v22, vcc
	v_add_u32_e32 v22, 1, v3
	v_cndmask_b32_e64 v22, v3, v22, s[2:3]
	v_mov_b32_e32 v23, v2
.LBB2_45:                               ;   in Loop: Header=BB2_40 Depth=2
	s_or_b64 exec, exec, s[4:5]
	v_mul_lo_u32 v3, v23, s28
	v_mul_lo_u32 v28, v22, s29
	v_mad_u64_u32 v[26:27], s[2:3], v22, s28, 0
	v_add_co_u32_e32 v22, vcc, v22, v10
	v_addc_co_u32_e32 v23, vcc, v23, v11, vcc
	v_add3_u32 v3, v27, v28, v3
	v_mul_lo_u32 v27, v23, s18
	v_mul_lo_u32 v28, v22, s19
	v_mad_u64_u32 v[22:23], s[2:3], v22, s18, 0
	v_sub_co_u32_e32 v24, vcc, v24, v26
	v_subb_co_u32_e32 v25, vcc, v25, v3, vcc
	v_cmp_eq_u64_e64 s[2:3], 0, v[24:25]
	v_add3_u32 v23, v23, v28, v27
	v_mov_b32_e32 v25, v13
	v_mov_b32_e32 v27, v21
	;; [unrolled: 1-line block ×3, first 2 shown]
	s_mov_b64 s[56:57], 0
	v_mov_b32_e32 v24, v12
	v_mov_b32_e32 v26, v20
	;; [unrolled: 1-line block ×3, first 2 shown]
	s_branch .LBB2_48
.LBB2_46:                               ;   in Loop: Header=BB2_48 Depth=3
	s_or_b64 exec, exec, s[4:5]
.LBB2_47:                               ;   in Loop: Header=BB2_48 Depth=3
	s_or_b64 exec, exec, s[58:59]
	v_add_co_u32_e32 v28, vcc, 1, v28
	v_addc_co_u32_e32 v29, vcc, 0, v29, vcc
	v_add_co_u32_e32 v26, vcc, 2, v26
	v_addc_co_u32_e32 v27, vcc, 0, v27, vcc
	v_cmp_ge_i64_e32 vcc, v[28:29], v[18:19]
	v_mov_b32_e32 v3, s27
	s_or_b64 s[56:57], vcc, s[56:57]
	v_subrev_co_u32_e32 v24, vcc, s26, v24
	v_subb_co_u32_e32 v25, vcc, v25, v3, vcc
	s_andn2_b64 exec, exec, s[56:57]
	s_cbranch_execz .LBB2_38
.LBB2_48:                               ;   Parent Loop BB2_4 Depth=1
                                        ;     Parent Loop BB2_40 Depth=2
                                        ; =>    This Inner Loop Header: Depth=3
	s_and_saveexec_b64 s[58:59], s[2:3]
	s_cbranch_execz .LBB2_47
; %bb.49:                               ;   in Loop: Header=BB2_48 Depth=3
	v_or_b32_e32 v3, s31, v25
	v_cmp_ne_u64_e32 vcc, 0, v[2:3]
                                        ; implicit-def: $vgpr30_vgpr31
	s_and_saveexec_b64 s[4:5], vcc
	s_xor_b64 s[60:61], exec, s[4:5]
	s_cbranch_execz .LBB2_51
; %bb.50:                               ;   in Loop: Header=BB2_48 Depth=3
	s_ashr_i32 s62, s31, 31
	s_add_u32 s4, s30, s62
	s_mov_b32 s63, s62
	s_addc_u32 s5, s31, s62
	s_xor_b64 s[64:65], s[4:5], s[62:63]
	v_cvt_f32_u32_e32 v3, s64
	v_cvt_f32_u32_e32 v30, s65
	s_sub_u32 s63, 0, s64
	s_subb_u32 s68, 0, s65
	v_mac_f32_e32 v3, 0x4f800000, v30
	v_rcp_f32_e32 v3, v3
	v_mul_f32_e32 v3, 0x5f7ffffc, v3
	v_mul_f32_e32 v30, 0x2f800000, v3
	v_trunc_f32_e32 v30, v30
	v_mac_f32_e32 v3, 0xcf800000, v30
	v_cvt_u32_f32_e32 v30, v30
	v_cvt_u32_f32_e32 v3, v3
	v_readfirstlane_b32 s69, v30
	v_readfirstlane_b32 s4, v3
	s_mul_i32 s5, s63, s69
	s_mul_hi_u32 s71, s63, s4
	s_mul_i32 s70, s68, s4
	s_add_i32 s5, s71, s5
	s_add_i32 s5, s5, s70
	s_mul_i32 s72, s63, s4
	s_mul_i32 s71, s4, s5
	s_mul_hi_u32 s73, s4, s72
	s_mul_hi_u32 s70, s4, s5
	s_add_u32 s71, s73, s71
	s_addc_u32 s70, 0, s70
	s_mul_hi_u32 s74, s69, s72
	s_mul_i32 s72, s69, s72
	s_add_u32 s71, s71, s72
	s_mul_hi_u32 s73, s69, s5
	s_addc_u32 s70, s70, s74
	s_addc_u32 s71, s73, 0
	s_mul_i32 s5, s69, s5
	s_add_u32 s5, s70, s5
	s_addc_u32 s70, 0, s71
	s_add_u32 s71, s4, s5
	s_cselect_b64 s[4:5], -1, 0
	s_cmp_lg_u64 s[4:5], 0
	s_addc_u32 s69, s69, s70
	s_mul_i32 s4, s63, s69
	s_mul_hi_u32 s5, s63, s71
	s_add_i32 s4, s5, s4
	s_mul_i32 s68, s68, s71
	s_add_i32 s4, s4, s68
	s_mul_i32 s63, s63, s71
	s_mul_hi_u32 s68, s69, s63
	s_mul_i32 s70, s69, s63
	s_mul_i32 s73, s71, s4
	s_mul_hi_u32 s63, s71, s63
	s_mul_hi_u32 s72, s71, s4
	s_add_u32 s63, s63, s73
	s_addc_u32 s72, 0, s72
	s_add_u32 s63, s63, s70
	s_mul_hi_u32 s5, s69, s4
	s_addc_u32 s63, s72, s68
	s_addc_u32 s5, s5, 0
	s_mul_i32 s4, s69, s4
	s_add_u32 s4, s63, s4
	s_addc_u32 s63, 0, s5
	s_add_u32 s68, s71, s4
	s_cselect_b64 s[4:5], -1, 0
	v_ashrrev_i32_e32 v3, 31, v25
	s_cmp_lg_u64 s[4:5], 0
	v_add_co_u32_e32 v30, vcc, v24, v3
	s_addc_u32 s63, s69, s63
	v_xor_b32_e32 v35, v30, v3
	v_mad_u64_u32 v[30:31], s[4:5], v35, s63, 0
	v_mul_hi_u32 v34, v35, s68
	v_addc_co_u32_e32 v33, vcc, v25, v3, vcc
	v_xor_b32_e32 v36, v33, v3
	v_add_co_u32_e32 v37, vcc, v34, v30
	v_addc_co_u32_e32 v38, vcc, 0, v31, vcc
	v_mad_u64_u32 v[30:31], s[4:5], v36, s68, 0
	v_mad_u64_u32 v[33:34], s[4:5], v36, s63, 0
	v_add_co_u32_e32 v30, vcc, v37, v30
	v_addc_co_u32_e32 v30, vcc, v38, v31, vcc
	v_addc_co_u32_e32 v31, vcc, 0, v34, vcc
	v_add_co_u32_e32 v33, vcc, v30, v33
	v_addc_co_u32_e32 v34, vcc, 0, v31, vcc
	v_mul_lo_u32 v37, s65, v33
	v_mul_lo_u32 v38, s64, v34
	v_mad_u64_u32 v[30:31], s[4:5], s64, v33, 0
	v_xor_b32_e32 v3, s62, v3
	v_add3_u32 v31, v31, v38, v37
	v_sub_u32_e32 v37, v36, v31
	v_mov_b32_e32 v38, s65
	v_sub_co_u32_e32 v30, vcc, v35, v30
	v_subb_co_u32_e64 v35, s[4:5], v37, v38, vcc
	v_subrev_co_u32_e64 v37, s[4:5], s64, v30
	v_subbrev_co_u32_e64 v35, s[4:5], 0, v35, s[4:5]
	v_cmp_le_u32_e64 s[4:5], s65, v35
	v_cndmask_b32_e64 v38, 0, -1, s[4:5]
	v_cmp_le_u32_e64 s[4:5], s64, v37
	v_cndmask_b32_e64 v37, 0, -1, s[4:5]
	v_cmp_eq_u32_e64 s[4:5], s65, v35
	v_cndmask_b32_e64 v35, v38, v37, s[4:5]
	v_add_co_u32_e64 v37, s[4:5], 2, v33
	v_subb_co_u32_e32 v31, vcc, v36, v31, vcc
	v_addc_co_u32_e64 v38, s[4:5], 0, v34, s[4:5]
	v_cmp_le_u32_e32 vcc, s65, v31
	v_add_co_u32_e64 v39, s[4:5], 1, v33
	v_cndmask_b32_e64 v36, 0, -1, vcc
	v_cmp_le_u32_e32 vcc, s64, v30
	v_addc_co_u32_e64 v40, s[4:5], 0, v34, s[4:5]
	v_cndmask_b32_e64 v30, 0, -1, vcc
	v_cmp_eq_u32_e32 vcc, s65, v31
	v_cmp_ne_u32_e64 s[4:5], 0, v35
	v_cndmask_b32_e32 v30, v36, v30, vcc
	v_cndmask_b32_e64 v35, v40, v38, s[4:5]
	v_cmp_ne_u32_e32 vcc, 0, v30
	v_cndmask_b32_e64 v31, v39, v37, s[4:5]
	v_cndmask_b32_e32 v30, v34, v35, vcc
	v_cndmask_b32_e32 v31, v33, v31, vcc
	v_xor_b32_e32 v33, v30, v3
	v_xor_b32_e32 v30, v31, v3
	v_sub_co_u32_e32 v30, vcc, v30, v3
	v_subb_co_u32_e32 v31, vcc, v33, v3, vcc
.LBB2_51:                               ;   in Loop: Header=BB2_48 Depth=3
	s_andn2_saveexec_b64 s[4:5], s[60:61]
	s_cbranch_execz .LBB2_53
; %bb.52:                               ;   in Loop: Header=BB2_48 Depth=3
	v_cvt_f32_u32_e32 v3, s30
	s_sub_i32 s60, 0, s30
	v_rcp_iflag_f32_e32 v3, v3
	v_mul_f32_e32 v3, 0x4f7ffffe, v3
	v_cvt_u32_f32_e32 v3, v3
	v_mul_lo_u32 v30, s60, v3
	v_mul_hi_u32 v30, v3, v30
	v_add_u32_e32 v3, v3, v30
	v_mul_hi_u32 v3, v24, v3
	v_mul_lo_u32 v30, v3, s30
	v_add_u32_e32 v31, 1, v3
	v_sub_u32_e32 v30, v24, v30
	v_subrev_u32_e32 v33, s30, v30
	v_cmp_le_u32_e32 vcc, s30, v30
	v_cndmask_b32_e32 v30, v30, v33, vcc
	v_cndmask_b32_e32 v3, v3, v31, vcc
	v_add_u32_e32 v31, 1, v3
	v_cmp_le_u32_e32 vcc, s30, v30
	v_cndmask_b32_e32 v30, v3, v31, vcc
	v_mov_b32_e32 v31, v2
.LBB2_53:                               ;   in Loop: Header=BB2_48 Depth=3
	s_or_b64 exec, exec, s[4:5]
	v_mul_lo_u32 v3, v31, s30
	v_mul_lo_u32 v35, v30, s31
	v_mad_u64_u32 v[33:34], s[4:5], v30, s30, 0
	v_add3_u32 v3, v34, v35, v3
	v_sub_co_u32_e32 v33, vcc, v24, v33
	v_subb_co_u32_e32 v34, vcc, v25, v3, vcc
	v_cmp_eq_u64_e32 vcc, 0, v[33:34]
	s_and_saveexec_b64 s[4:5], vcc
	s_cbranch_execz .LBB2_46
; %bb.54:                               ;   in Loop: Header=BB2_48 Depth=3
	v_add_co_u32_e32 v3, vcc, v22, v30
	v_addc_co_u32_e32 v30, vcc, v23, v31, vcc
	v_mul_lo_u32 v33, v3, s37
	v_mul_lo_u32 v34, v30, s36
	v_mad_u64_u32 v[30:31], s[60:61], v3, s36, v[14:15]
	v_add3_u32 v3, v34, v31, v33
	v_mul_lo_u32 v3, s46, v3
	v_mul_lo_u32 v33, s47, v30
	v_mad_u64_u32 v[30:31], s[60:61], s46, v30, v[26:27]
	v_add3_u32 v31, v33, v31, v3
	global_load_ushort v3, v[30:31], off
	s_waitcnt vmcnt(0)
	v_cvt_f32_f16_e32 v3, v3
	v_add_f32_e32 v32, v32, v3
	s_branch .LBB2_46
.LBB2_55:
	s_endpgm
	.section	.rodata,"a",@progbits
	.p2align	6, 0x0
	.amdhsa_kernel _ZN2at6native13col2im_kernelIN3c104HalfEfEEvlPKT_llllllllllllPS4_
		.amdhsa_group_segment_fixed_size 0
		.amdhsa_private_segment_fixed_size 0
		.amdhsa_kernarg_size 376
		.amdhsa_user_sgpr_count 6
		.amdhsa_user_sgpr_private_segment_buffer 1
		.amdhsa_user_sgpr_dispatch_ptr 0
		.amdhsa_user_sgpr_queue_ptr 0
		.amdhsa_user_sgpr_kernarg_segment_ptr 1
		.amdhsa_user_sgpr_dispatch_id 0
		.amdhsa_user_sgpr_flat_scratch_init 0
		.amdhsa_user_sgpr_private_segment_size 0
		.amdhsa_uses_dynamic_stack 0
		.amdhsa_system_sgpr_private_segment_wavefront_offset 0
		.amdhsa_system_sgpr_workgroup_id_x 1
		.amdhsa_system_sgpr_workgroup_id_y 0
		.amdhsa_system_sgpr_workgroup_id_z 0
		.amdhsa_system_sgpr_workgroup_info 0
		.amdhsa_system_vgpr_workitem_id 0
		.amdhsa_next_free_vgpr 41
		.amdhsa_next_free_sgpr 75
		.amdhsa_reserve_vcc 1
		.amdhsa_reserve_flat_scratch 0
		.amdhsa_float_round_mode_32 0
		.amdhsa_float_round_mode_16_64 0
		.amdhsa_float_denorm_mode_32 3
		.amdhsa_float_denorm_mode_16_64 3
		.amdhsa_dx10_clamp 1
		.amdhsa_ieee_mode 1
		.amdhsa_fp16_overflow 0
		.amdhsa_exception_fp_ieee_invalid_op 0
		.amdhsa_exception_fp_denorm_src 0
		.amdhsa_exception_fp_ieee_div_zero 0
		.amdhsa_exception_fp_ieee_overflow 0
		.amdhsa_exception_fp_ieee_underflow 0
		.amdhsa_exception_fp_ieee_inexact 0
		.amdhsa_exception_int_div_zero 0
	.end_amdhsa_kernel
	.section	.text._ZN2at6native13col2im_kernelIN3c104HalfEfEEvlPKT_llllllllllllPS4_,"axG",@progbits,_ZN2at6native13col2im_kernelIN3c104HalfEfEEvlPKT_llllllllllllPS4_,comdat
.Lfunc_end2:
	.size	_ZN2at6native13col2im_kernelIN3c104HalfEfEEvlPKT_llllllllllllPS4_, .Lfunc_end2-_ZN2at6native13col2im_kernelIN3c104HalfEfEEvlPKT_llllllllllllPS4_
                                        ; -- End function
	.set _ZN2at6native13col2im_kernelIN3c104HalfEfEEvlPKT_llllllllllllPS4_.num_vgpr, 41
	.set _ZN2at6native13col2im_kernelIN3c104HalfEfEEvlPKT_llllllllllllPS4_.num_agpr, 0
	.set _ZN2at6native13col2im_kernelIN3c104HalfEfEEvlPKT_llllllllllllPS4_.numbered_sgpr, 75
	.set _ZN2at6native13col2im_kernelIN3c104HalfEfEEvlPKT_llllllllllllPS4_.num_named_barrier, 0
	.set _ZN2at6native13col2im_kernelIN3c104HalfEfEEvlPKT_llllllllllllPS4_.private_seg_size, 0
	.set _ZN2at6native13col2im_kernelIN3c104HalfEfEEvlPKT_llllllllllllPS4_.uses_vcc, 1
	.set _ZN2at6native13col2im_kernelIN3c104HalfEfEEvlPKT_llllllllllllPS4_.uses_flat_scratch, 0
	.set _ZN2at6native13col2im_kernelIN3c104HalfEfEEvlPKT_llllllllllllPS4_.has_dyn_sized_stack, 0
	.set _ZN2at6native13col2im_kernelIN3c104HalfEfEEvlPKT_llllllllllllPS4_.has_recursion, 0
	.set _ZN2at6native13col2im_kernelIN3c104HalfEfEEvlPKT_llllllllllllPS4_.has_indirect_call, 0
	.section	.AMDGPU.csdata,"",@progbits
; Kernel info:
; codeLenInByte = 7668
; TotalNumSgprs: 79
; NumVgprs: 41
; ScratchSize: 0
; MemoryBound: 0
; FloatMode: 240
; IeeeMode: 1
; LDSByteSize: 0 bytes/workgroup (compile time only)
; SGPRBlocks: 9
; VGPRBlocks: 10
; NumSGPRsForWavesPerEU: 79
; NumVGPRsForWavesPerEU: 41
; Occupancy: 5
; WaveLimiterHint : 0
; COMPUTE_PGM_RSRC2:SCRATCH_EN: 0
; COMPUTE_PGM_RSRC2:USER_SGPR: 6
; COMPUTE_PGM_RSRC2:TRAP_HANDLER: 0
; COMPUTE_PGM_RSRC2:TGID_X_EN: 1
; COMPUTE_PGM_RSRC2:TGID_Y_EN: 0
; COMPUTE_PGM_RSRC2:TGID_Z_EN: 0
; COMPUTE_PGM_RSRC2:TIDIG_COMP_CNT: 0
	.section	.text._ZN2at6native13col2im_kernelIN3c108BFloat16EfEEvlPKT_llllllllllllPS4_,"axG",@progbits,_ZN2at6native13col2im_kernelIN3c108BFloat16EfEEvlPKT_llllllllllllPS4_,comdat
	.protected	_ZN2at6native13col2im_kernelIN3c108BFloat16EfEEvlPKT_llllllllllllPS4_ ; -- Begin function _ZN2at6native13col2im_kernelIN3c108BFloat16EfEEvlPKT_llllllllllllPS4_
	.globl	_ZN2at6native13col2im_kernelIN3c108BFloat16EfEEvlPKT_llllllllllllPS4_
	.p2align	8
	.type	_ZN2at6native13col2im_kernelIN3c108BFloat16EfEEvlPKT_llllllllllllPS4_,@function
_ZN2at6native13col2im_kernelIN3c108BFloat16EfEEvlPKT_llllllllllllPS4_: ; @_ZN2at6native13col2im_kernelIN3c108BFloat16EfEEvlPKT_llllllllllllPS4_
; %bb.0:
	s_load_dword s2, s[4:5], 0x84
	s_load_dwordx16 s[8:23], s[4:5], 0x0
	s_add_u32 s0, s4, 0x78
	v_mov_b32_e32 v2, 0
	s_addc_u32 s1, s5, 0
	s_waitcnt lgkmcnt(0)
	s_and_b32 s2, s2, 0xffff
	v_mov_b32_e32 v1, v2
	v_mov_b32_e32 v3, s6
	v_mad_u64_u32 v[0:1], s[6:7], s2, v3, v[0:1]
	v_cmp_gt_i64_e32 vcc, s[8:9], v[0:1]
	s_and_saveexec_b64 s[6:7], vcc
	s_cbranch_execz .LBB3_55
; %bb.1:
	s_load_dwordx8 s[24:31], s[4:5], 0x40
	s_load_dwordx8 s[36:43], s[4:5], 0x60
	s_load_dword s3, s[0:1], 0x0
	s_mul_i32 s0, s14, s13
	s_mul_hi_u32 s1, s14, s12
	s_add_i32 s0, s1, s0
	s_mul_i32 s1, s15, s12
	s_add_i32 s33, s0, s1
	s_add_u32 s0, s18, -1
	s_addc_u32 s1, s19, -1
	s_waitcnt lgkmcnt(0)
	s_mul_i32 s1, s30, s1
	s_mul_hi_u32 s4, s30, s0
	s_add_i32 s1, s4, s1
	s_mul_i32 s4, s31, s0
	s_add_i32 s7, s1, s4
	s_mul_i32 s6, s30, s0
	s_add_u32 s0, s16, -1
	s_addc_u32 s1, s17, -1
	s_mul_i32 s1, s28, s1
	s_mul_hi_u32 s4, s28, s0
	s_add_i32 s1, s4, s1
	s_mul_i32 s4, s29, s0
	s_add_i32 s35, s1, s4
	s_mul_i32 s34, s28, s0
	s_mul_i32 s66, s14, s12
	s_not_b64 s[42:43], s[34:35]
	s_not_b64 s[44:45], s[6:7]
	s_mul_i32 s67, s3, s2
	s_lshl_b64 s[46:47], s[38:39], 1
	s_mov_b64 s[48:49], 0
	s_movk_i32 s68, 0x7fff
	v_mov_b32_e32 v32, 0x7fc0
	s_branch .LBB3_4
.LBB3_2:                                ;   in Loop: Header=BB3_4 Depth=1
	s_or_b64 exec, exec, s[52:53]
.LBB3_3:                                ;   in Loop: Header=BB3_4 Depth=1
	s_or_b64 exec, exec, s[50:51]
	v_bfe_u32 v3, v33, 16, 1
	v_add3_u32 v3, v33, v3, s68
	v_cmp_o_f32_e32 vcc, v33, v33
	v_cndmask_b32_sdwa v6, v32, v3, vcc dst_sel:DWORD dst_unused:UNUSED_PAD src0_sel:DWORD src1_sel:WORD_1
	v_add_co_u32_e32 v0, vcc, s67, v0
	v_lshlrev_b64 v[3:4], 1, v[4:5]
	v_addc_co_u32_e32 v1, vcc, 0, v1, vcc
	v_cmp_le_i64_e32 vcc, s[8:9], v[0:1]
	v_mov_b32_e32 v5, s41
	v_add_co_u32_e64 v3, s[0:1], s40, v3
	v_addc_co_u32_e64 v4, s[0:1], v5, v4, s[0:1]
	s_or_b64 s[48:49], vcc, s[48:49]
	global_store_short v[3:4], v6, off
	s_andn2_b64 exec, exec, s[48:49]
	s_cbranch_execz .LBB3_55
.LBB3_4:                                ; =>This Loop Header: Depth=1
                                        ;     Child Loop BB3_40 Depth 2
                                        ;       Child Loop BB3_48 Depth 3
	v_ashrrev_i32_e32 v5, 31, v0
	v_or_b32_e32 v3, s15, v5
	v_cmp_ne_u64_e32 vcc, 0, v[2:3]
	v_mov_b32_e32 v4, v0
	v_ashrrev_i32_e32 v12, 31, v5
                                        ; implicit-def: $vgpr6_vgpr7
	s_and_saveexec_b64 s[0:1], vcc
	s_xor_b64 s[2:3], exec, s[0:1]
	s_cbranch_execz .LBB3_6
; %bb.5:                                ;   in Loop: Header=BB3_4 Depth=1
	s_ashr_i32 s4, s15, 31
	s_add_u32 s0, s14, s4
	s_mov_b32 s5, s4
	s_addc_u32 s1, s15, s4
	s_xor_b64 s[50:51], s[0:1], s[4:5]
	v_cvt_f32_u32_e32 v3, s50
	v_cvt_f32_u32_e32 v6, s51
	s_sub_u32 s5, 0, s50
	s_subb_u32 s52, 0, s51
	v_mac_f32_e32 v3, 0x4f800000, v6
	v_rcp_f32_e32 v3, v3
	v_mul_f32_e32 v3, 0x5f7ffffc, v3
	v_mul_f32_e32 v6, 0x2f800000, v3
	v_trunc_f32_e32 v6, v6
	v_mac_f32_e32 v3, 0xcf800000, v6
	v_cvt_u32_f32_e32 v6, v6
	v_cvt_u32_f32_e32 v3, v3
	v_readfirstlane_b32 s53, v6
	v_readfirstlane_b32 s0, v3
	s_mul_i32 s1, s5, s53
	s_mul_hi_u32 s55, s5, s0
	s_mul_i32 s54, s52, s0
	s_add_i32 s1, s55, s1
	s_add_i32 s1, s1, s54
	s_mul_i32 s56, s5, s0
	s_mul_i32 s55, s0, s1
	s_mul_hi_u32 s57, s0, s56
	s_mul_hi_u32 s54, s0, s1
	s_add_u32 s55, s57, s55
	s_addc_u32 s54, 0, s54
	s_mul_hi_u32 s58, s53, s56
	s_mul_i32 s56, s53, s56
	s_add_u32 s55, s55, s56
	s_mul_hi_u32 s57, s53, s1
	s_addc_u32 s54, s54, s58
	s_addc_u32 s55, s57, 0
	s_mul_i32 s1, s53, s1
	s_add_u32 s1, s54, s1
	s_addc_u32 s54, 0, s55
	s_add_u32 s55, s0, s1
	s_cselect_b64 s[0:1], -1, 0
	s_cmp_lg_u64 s[0:1], 0
	s_addc_u32 s53, s53, s54
	s_mul_i32 s0, s5, s53
	s_mul_hi_u32 s1, s5, s55
	s_add_i32 s0, s1, s0
	s_mul_i32 s52, s52, s55
	s_add_i32 s0, s0, s52
	s_mul_i32 s5, s5, s55
	s_mul_hi_u32 s52, s53, s5
	s_mul_i32 s54, s53, s5
	s_mul_i32 s57, s55, s0
	s_mul_hi_u32 s5, s55, s5
	s_mul_hi_u32 s56, s55, s0
	s_add_u32 s5, s5, s57
	s_addc_u32 s56, 0, s56
	s_add_u32 s5, s5, s54
	s_mul_hi_u32 s1, s53, s0
	s_addc_u32 s5, s56, s52
	s_addc_u32 s1, s1, 0
	s_mul_i32 s0, s53, s0
	s_add_u32 s0, s5, s0
	s_addc_u32 s5, 0, s1
	s_add_u32 s52, s55, s0
	s_cselect_b64 s[0:1], -1, 0
	s_cmp_lg_u64 s[0:1], 0
	v_add_co_u32_e32 v3, vcc, v4, v12
	s_addc_u32 s5, s53, s5
	v_xor_b32_e32 v3, v3, v12
	v_mad_u64_u32 v[6:7], s[0:1], v3, s5, 0
	v_mul_hi_u32 v9, v3, s52
	v_addc_co_u32_e32 v8, vcc, v5, v12, vcc
	v_xor_b32_e32 v10, v8, v12
	v_add_co_u32_e32 v11, vcc, v9, v6
	v_addc_co_u32_e32 v13, vcc, 0, v7, vcc
	v_mad_u64_u32 v[6:7], s[0:1], v10, s52, 0
	v_mad_u64_u32 v[8:9], s[0:1], v10, s5, 0
	v_add_co_u32_e32 v6, vcc, v11, v6
	v_addc_co_u32_e32 v6, vcc, v13, v7, vcc
	v_addc_co_u32_e32 v7, vcc, 0, v9, vcc
	v_add_co_u32_e32 v8, vcc, v6, v8
	v_addc_co_u32_e32 v9, vcc, 0, v7, vcc
	v_mul_lo_u32 v11, s51, v8
	v_mul_lo_u32 v13, s50, v9
	v_mad_u64_u32 v[6:7], s[0:1], s50, v8, 0
	v_add3_u32 v7, v7, v13, v11
	v_sub_u32_e32 v11, v10, v7
	v_mov_b32_e32 v13, s51
	v_sub_co_u32_e32 v3, vcc, v3, v6
	v_subb_co_u32_e64 v6, s[0:1], v11, v13, vcc
	v_subrev_co_u32_e64 v11, s[0:1], s50, v3
	v_subbrev_co_u32_e64 v6, s[0:1], 0, v6, s[0:1]
	v_cmp_le_u32_e64 s[0:1], s51, v6
	v_cndmask_b32_e64 v13, 0, -1, s[0:1]
	v_cmp_le_u32_e64 s[0:1], s50, v11
	v_cndmask_b32_e64 v11, 0, -1, s[0:1]
	v_cmp_eq_u32_e64 s[0:1], s51, v6
	v_cndmask_b32_e64 v6, v13, v11, s[0:1]
	v_add_co_u32_e64 v11, s[0:1], 2, v8
	v_subb_co_u32_e32 v7, vcc, v10, v7, vcc
	v_addc_co_u32_e64 v13, s[0:1], 0, v9, s[0:1]
	v_cmp_le_u32_e32 vcc, s51, v7
	v_add_co_u32_e64 v14, s[0:1], 1, v8
	v_cndmask_b32_e64 v10, 0, -1, vcc
	v_cmp_le_u32_e32 vcc, s50, v3
	v_addc_co_u32_e64 v15, s[0:1], 0, v9, s[0:1]
	v_cndmask_b32_e64 v3, 0, -1, vcc
	v_cmp_eq_u32_e32 vcc, s51, v7
	v_cmp_ne_u32_e64 s[0:1], 0, v6
	v_cndmask_b32_e32 v3, v10, v3, vcc
	v_cndmask_b32_e64 v6, v15, v13, s[0:1]
	v_cmp_ne_u32_e32 vcc, 0, v3
	v_cndmask_b32_e32 v3, v9, v6, vcc
	v_cndmask_b32_e64 v6, v14, v11, s[0:1]
	v_cndmask_b32_e32 v6, v8, v6, vcc
	v_xor_b32_e32 v7, s4, v12
	v_xor_b32_e32 v6, v6, v7
	;; [unrolled: 1-line block ×3, first 2 shown]
	v_sub_co_u32_e32 v6, vcc, v6, v7
	v_subb_co_u32_e32 v7, vcc, v3, v7, vcc
.LBB3_6:                                ;   in Loop: Header=BB3_4 Depth=1
	s_andn2_saveexec_b64 s[0:1], s[2:3]
	s_cbranch_execz .LBB3_8
; %bb.7:                                ;   in Loop: Header=BB3_4 Depth=1
	v_cvt_f32_u32_e32 v3, s14
	s_sub_i32 s2, 0, s14
	v_rcp_iflag_f32_e32 v3, v3
	v_mul_f32_e32 v3, 0x4f7ffffe, v3
	v_cvt_u32_f32_e32 v3, v3
	v_mul_lo_u32 v6, s2, v3
	v_mul_hi_u32 v6, v3, v6
	v_add_u32_e32 v3, v3, v6
	v_mul_hi_u32 v3, v4, v3
	v_mul_lo_u32 v6, v3, s14
	v_add_u32_e32 v7, 1, v3
	v_sub_u32_e32 v6, v4, v6
	v_subrev_u32_e32 v8, s14, v6
	v_cmp_le_u32_e32 vcc, s14, v6
	v_cndmask_b32_e32 v6, v6, v8, vcc
	v_cndmask_b32_e32 v3, v3, v7, vcc
	v_add_u32_e32 v7, 1, v3
	v_cmp_le_u32_e32 vcc, s14, v6
	v_cndmask_b32_e32 v6, v3, v7, vcc
	v_mov_b32_e32 v7, v2
.LBB3_8:                                ;   in Loop: Header=BB3_4 Depth=1
	s_or_b64 exec, exec, s[0:1]
	v_or_b32_e32 v3, s13, v7
	v_cmp_ne_u64_e32 vcc, 0, v[2:3]
                                        ; implicit-def: $vgpr8_vgpr9
	s_and_saveexec_b64 s[0:1], vcc
	s_xor_b64 s[4:5], exec, s[0:1]
	s_cbranch_execz .LBB3_10
; %bb.9:                                ;   in Loop: Header=BB3_4 Depth=1
	s_ashr_i32 s0, s13, 31
	s_add_u32 s2, s12, s0
	s_mov_b32 s1, s0
	s_addc_u32 s3, s13, s0
	s_xor_b64 s[50:51], s[2:3], s[0:1]
	v_cvt_f32_u32_e32 v3, s50
	v_cvt_f32_u32_e32 v8, s51
	s_sub_u32 s2, 0, s50
	s_subb_u32 s3, 0, s51
	v_mac_f32_e32 v3, 0x4f800000, v8
	v_rcp_f32_e32 v3, v3
	v_mul_f32_e32 v3, 0x5f7ffffc, v3
	v_mul_f32_e32 v8, 0x2f800000, v3
	v_trunc_f32_e32 v8, v8
	v_mac_f32_e32 v3, 0xcf800000, v8
	v_cvt_u32_f32_e32 v8, v8
	v_cvt_u32_f32_e32 v3, v3
	v_readfirstlane_b32 s52, v8
	v_readfirstlane_b32 s0, v3
	s_mul_i32 s1, s2, s52
	s_mul_hi_u32 s54, s2, s0
	s_mul_i32 s53, s3, s0
	s_add_i32 s1, s54, s1
	s_add_i32 s1, s1, s53
	s_mul_i32 s55, s2, s0
	s_mul_i32 s54, s0, s1
	s_mul_hi_u32 s56, s0, s55
	s_mul_hi_u32 s53, s0, s1
	s_add_u32 s54, s56, s54
	s_addc_u32 s53, 0, s53
	s_mul_hi_u32 s57, s52, s55
	s_mul_i32 s55, s52, s55
	s_add_u32 s54, s54, s55
	s_mul_hi_u32 s56, s52, s1
	s_addc_u32 s53, s53, s57
	s_addc_u32 s54, s56, 0
	s_mul_i32 s1, s52, s1
	s_add_u32 s1, s53, s1
	s_addc_u32 s53, 0, s54
	s_add_u32 s54, s0, s1
	s_cselect_b64 s[0:1], -1, 0
	s_cmp_lg_u64 s[0:1], 0
	s_addc_u32 s52, s52, s53
	s_mul_i32 s0, s2, s52
	s_mul_hi_u32 s1, s2, s54
	s_add_i32 s0, s1, s0
	s_mul_i32 s3, s3, s54
	s_add_i32 s0, s0, s3
	s_mul_i32 s2, s2, s54
	s_mul_hi_u32 s3, s52, s2
	s_mul_i32 s53, s52, s2
	s_mul_i32 s56, s54, s0
	s_mul_hi_u32 s2, s54, s2
	s_mul_hi_u32 s55, s54, s0
	s_add_u32 s2, s2, s56
	s_addc_u32 s55, 0, s55
	s_add_u32 s2, s2, s53
	s_mul_hi_u32 s1, s52, s0
	s_addc_u32 s2, s55, s3
	s_addc_u32 s1, s1, 0
	s_mul_i32 s0, s52, s0
	s_add_u32 s0, s2, s0
	s_addc_u32 s2, 0, s1
	s_add_u32 s3, s54, s0
	s_cselect_b64 s[0:1], -1, 0
	v_ashrrev_i32_e32 v3, 31, v7
	s_cmp_lg_u64 s[0:1], 0
	v_add_co_u32_e32 v8, vcc, v6, v3
	s_addc_u32 s2, s52, s2
	v_xor_b32_e32 v13, v8, v3
	v_mad_u64_u32 v[8:9], s[0:1], v13, s2, 0
	v_mul_hi_u32 v11, v13, s3
	v_addc_co_u32_e32 v10, vcc, v7, v3, vcc
	v_xor_b32_e32 v14, v10, v3
	v_add_co_u32_e32 v15, vcc, v11, v8
	v_addc_co_u32_e32 v16, vcc, 0, v9, vcc
	v_mad_u64_u32 v[8:9], s[0:1], v14, s3, 0
	v_mad_u64_u32 v[10:11], s[0:1], v14, s2, 0
	v_add_co_u32_e32 v8, vcc, v15, v8
	v_addc_co_u32_e32 v8, vcc, v16, v9, vcc
	v_addc_co_u32_e32 v9, vcc, 0, v11, vcc
	v_add_co_u32_e32 v8, vcc, v8, v10
	v_addc_co_u32_e32 v9, vcc, 0, v9, vcc
	v_mul_lo_u32 v10, s51, v8
	v_mul_lo_u32 v11, s50, v9
	v_mad_u64_u32 v[8:9], s[0:1], s50, v8, 0
	v_add3_u32 v9, v9, v11, v10
	v_sub_u32_e32 v10, v14, v9
	v_mov_b32_e32 v11, s51
	v_sub_co_u32_e32 v8, vcc, v13, v8
	v_subb_co_u32_e64 v10, s[0:1], v10, v11, vcc
	v_subrev_co_u32_e64 v13, s[0:1], s50, v8
	v_subbrev_co_u32_e64 v15, s[2:3], 0, v10, s[0:1]
	v_cmp_le_u32_e64 s[2:3], s51, v15
	v_cndmask_b32_e64 v16, 0, -1, s[2:3]
	v_cmp_le_u32_e64 s[2:3], s50, v13
	v_subb_co_u32_e64 v10, s[0:1], v10, v11, s[0:1]
	v_cndmask_b32_e64 v17, 0, -1, s[2:3]
	v_cmp_eq_u32_e64 s[2:3], s51, v15
	v_subrev_co_u32_e64 v11, s[0:1], s50, v13
	v_subb_co_u32_e32 v9, vcc, v14, v9, vcc
	v_cndmask_b32_e64 v16, v16, v17, s[2:3]
	v_subbrev_co_u32_e64 v10, s[0:1], 0, v10, s[0:1]
	v_cmp_le_u32_e32 vcc, s51, v9
	v_cmp_ne_u32_e64 s[0:1], 0, v16
	v_cndmask_b32_e64 v14, 0, -1, vcc
	v_cmp_le_u32_e32 vcc, s50, v8
	v_cndmask_b32_e64 v10, v15, v10, s[0:1]
	v_cndmask_b32_e64 v15, 0, -1, vcc
	v_cmp_eq_u32_e32 vcc, s51, v9
	v_cndmask_b32_e32 v14, v14, v15, vcc
	v_cmp_ne_u32_e32 vcc, 0, v14
	v_cndmask_b32_e32 v9, v9, v10, vcc
	v_cndmask_b32_e64 v10, v13, v11, s[0:1]
	v_cndmask_b32_e32 v8, v8, v10, vcc
	v_xor_b32_e32 v8, v8, v3
	v_xor_b32_e32 v9, v9, v3
	v_sub_co_u32_e32 v8, vcc, v8, v3
	v_subb_co_u32_e32 v9, vcc, v9, v3, vcc
.LBB3_10:                               ;   in Loop: Header=BB3_4 Depth=1
	s_andn2_saveexec_b64 s[0:1], s[4:5]
	s_cbranch_execz .LBB3_12
; %bb.11:                               ;   in Loop: Header=BB3_4 Depth=1
	v_cvt_f32_u32_e32 v3, s12
	s_sub_i32 s2, 0, s12
	v_mov_b32_e32 v9, v2
	v_rcp_iflag_f32_e32 v3, v3
	v_mul_f32_e32 v3, 0x4f7ffffe, v3
	v_cvt_u32_f32_e32 v3, v3
	v_mul_lo_u32 v8, s2, v3
	v_mul_hi_u32 v8, v3, v8
	v_add_u32_e32 v3, v3, v8
	v_mul_hi_u32 v3, v6, v3
	v_mul_lo_u32 v3, v3, s12
	v_sub_u32_e32 v3, v6, v3
	v_subrev_u32_e32 v8, s12, v3
	v_cmp_le_u32_e32 vcc, s12, v3
	v_cndmask_b32_e32 v3, v3, v8, vcc
	v_subrev_u32_e32 v8, s12, v3
	v_cmp_le_u32_e32 vcc, s12, v3
	v_cndmask_b32_e32 v8, v3, v8, vcc
.LBB3_12:                               ;   in Loop: Header=BB3_4 Depth=1
	s_or_b64 exec, exec, s[0:1]
	v_or_b32_e32 v3, s33, v5
	v_cmp_ne_u64_e32 vcc, 0, v[2:3]
                                        ; implicit-def: $vgpr10_vgpr11
	s_and_saveexec_b64 s[0:1], vcc
	s_xor_b64 s[2:3], exec, s[0:1]
	s_cbranch_execz .LBB3_14
; %bb.13:                               ;   in Loop: Header=BB3_4 Depth=1
	s_ashr_i32 s4, s33, 31
	s_add_u32 s0, s66, s4
	s_mov_b32 s5, s4
	s_addc_u32 s1, s33, s4
	s_xor_b64 s[50:51], s[0:1], s[4:5]
	v_cvt_f32_u32_e32 v3, s50
	v_cvt_f32_u32_e32 v10, s51
	s_sub_u32 s5, 0, s50
	s_subb_u32 s52, 0, s51
	v_mac_f32_e32 v3, 0x4f800000, v10
	v_rcp_f32_e32 v3, v3
	v_mul_f32_e32 v3, 0x5f7ffffc, v3
	v_mul_f32_e32 v10, 0x2f800000, v3
	v_trunc_f32_e32 v10, v10
	v_mac_f32_e32 v3, 0xcf800000, v10
	v_cvt_u32_f32_e32 v10, v10
	v_cvt_u32_f32_e32 v3, v3
	v_readfirstlane_b32 s53, v10
	v_readfirstlane_b32 s0, v3
	s_mul_i32 s1, s5, s53
	s_mul_hi_u32 s55, s5, s0
	s_mul_i32 s54, s52, s0
	s_add_i32 s1, s55, s1
	s_add_i32 s1, s1, s54
	s_mul_i32 s56, s5, s0
	s_mul_i32 s55, s0, s1
	s_mul_hi_u32 s57, s0, s56
	s_mul_hi_u32 s54, s0, s1
	s_add_u32 s55, s57, s55
	s_addc_u32 s54, 0, s54
	s_mul_hi_u32 s58, s53, s56
	s_mul_i32 s56, s53, s56
	s_add_u32 s55, s55, s56
	s_mul_hi_u32 s57, s53, s1
	s_addc_u32 s54, s54, s58
	s_addc_u32 s55, s57, 0
	s_mul_i32 s1, s53, s1
	s_add_u32 s1, s54, s1
	s_addc_u32 s54, 0, s55
	s_add_u32 s55, s0, s1
	s_cselect_b64 s[0:1], -1, 0
	s_cmp_lg_u64 s[0:1], 0
	s_addc_u32 s53, s53, s54
	s_mul_i32 s0, s5, s53
	s_mul_hi_u32 s1, s5, s55
	s_add_i32 s0, s1, s0
	s_mul_i32 s52, s52, s55
	s_add_i32 s0, s0, s52
	s_mul_i32 s5, s5, s55
	s_mul_hi_u32 s52, s53, s5
	s_mul_i32 s54, s53, s5
	s_mul_i32 s57, s55, s0
	s_mul_hi_u32 s5, s55, s5
	s_mul_hi_u32 s56, s55, s0
	s_add_u32 s5, s5, s57
	s_addc_u32 s56, 0, s56
	s_add_u32 s5, s5, s54
	s_mul_hi_u32 s1, s53, s0
	s_addc_u32 s5, s56, s52
	s_addc_u32 s1, s1, 0
	s_mul_i32 s0, s53, s0
	s_add_u32 s0, s5, s0
	s_addc_u32 s5, 0, s1
	s_add_u32 s52, s55, s0
	s_cselect_b64 s[0:1], -1, 0
	s_cmp_lg_u64 s[0:1], 0
	v_add_co_u32_e32 v3, vcc, v4, v12
	s_addc_u32 s5, s53, s5
	v_xor_b32_e32 v3, v3, v12
	v_mad_u64_u32 v[10:11], s[0:1], v3, s5, 0
	v_mul_hi_u32 v14, v3, s52
	v_addc_co_u32_e32 v13, vcc, v5, v12, vcc
	v_xor_b32_e32 v15, v13, v12
	v_add_co_u32_e32 v16, vcc, v14, v10
	v_addc_co_u32_e32 v17, vcc, 0, v11, vcc
	v_mad_u64_u32 v[10:11], s[0:1], v15, s52, 0
	v_mad_u64_u32 v[13:14], s[0:1], v15, s5, 0
	v_add_co_u32_e32 v10, vcc, v16, v10
	v_addc_co_u32_e32 v10, vcc, v17, v11, vcc
	v_addc_co_u32_e32 v11, vcc, 0, v14, vcc
	v_add_co_u32_e32 v13, vcc, v10, v13
	v_addc_co_u32_e32 v14, vcc, 0, v11, vcc
	v_mul_lo_u32 v16, s51, v13
	v_mul_lo_u32 v17, s50, v14
	v_mad_u64_u32 v[10:11], s[0:1], s50, v13, 0
	v_add3_u32 v11, v11, v17, v16
	v_sub_u32_e32 v16, v15, v11
	v_mov_b32_e32 v17, s51
	v_sub_co_u32_e32 v3, vcc, v3, v10
	v_subb_co_u32_e64 v10, s[0:1], v16, v17, vcc
	v_subrev_co_u32_e64 v16, s[0:1], s50, v3
	v_subbrev_co_u32_e64 v10, s[0:1], 0, v10, s[0:1]
	v_cmp_le_u32_e64 s[0:1], s51, v10
	v_cndmask_b32_e64 v17, 0, -1, s[0:1]
	v_cmp_le_u32_e64 s[0:1], s50, v16
	v_cndmask_b32_e64 v16, 0, -1, s[0:1]
	v_cmp_eq_u32_e64 s[0:1], s51, v10
	v_cndmask_b32_e64 v10, v17, v16, s[0:1]
	v_add_co_u32_e64 v16, s[0:1], 2, v13
	v_subb_co_u32_e32 v11, vcc, v15, v11, vcc
	v_addc_co_u32_e64 v17, s[0:1], 0, v14, s[0:1]
	v_cmp_le_u32_e32 vcc, s51, v11
	v_add_co_u32_e64 v18, s[0:1], 1, v13
	v_cndmask_b32_e64 v15, 0, -1, vcc
	v_cmp_le_u32_e32 vcc, s50, v3
	v_addc_co_u32_e64 v19, s[0:1], 0, v14, s[0:1]
	v_cndmask_b32_e64 v3, 0, -1, vcc
	v_cmp_eq_u32_e32 vcc, s51, v11
	v_cmp_ne_u32_e64 s[0:1], 0, v10
	v_cndmask_b32_e32 v3, v15, v3, vcc
	v_cndmask_b32_e64 v10, v19, v17, s[0:1]
	v_cmp_ne_u32_e32 vcc, 0, v3
	v_cndmask_b32_e32 v3, v14, v10, vcc
	v_cndmask_b32_e64 v10, v18, v16, s[0:1]
	v_cndmask_b32_e32 v10, v13, v10, vcc
	v_xor_b32_e32 v11, s4, v12
	v_xor_b32_e32 v10, v10, v11
	v_xor_b32_e32 v3, v3, v11
	v_sub_co_u32_e32 v10, vcc, v10, v11
	v_subb_co_u32_e32 v11, vcc, v3, v11, vcc
.LBB3_14:                               ;   in Loop: Header=BB3_4 Depth=1
	s_andn2_saveexec_b64 s[0:1], s[2:3]
	s_cbranch_execz .LBB3_16
; %bb.15:                               ;   in Loop: Header=BB3_4 Depth=1
	v_cvt_f32_u32_e32 v3, s66
	s_sub_i32 s2, 0, s66
	v_rcp_iflag_f32_e32 v3, v3
	v_mul_f32_e32 v3, 0x4f7ffffe, v3
	v_cvt_u32_f32_e32 v3, v3
	v_mul_lo_u32 v10, s2, v3
	v_mul_hi_u32 v10, v3, v10
	v_add_u32_e32 v3, v3, v10
	v_mul_hi_u32 v3, v0, v3
	v_mul_lo_u32 v10, v3, s66
	v_add_u32_e32 v11, 1, v3
	v_sub_u32_e32 v10, v0, v10
	v_subrev_u32_e32 v12, s66, v10
	v_cmp_le_u32_e32 vcc, s66, v10
	v_cndmask_b32_e32 v10, v10, v12, vcc
	v_cndmask_b32_e32 v3, v3, v11, vcc
	v_add_u32_e32 v11, 1, v3
	v_cmp_le_u32_e32 vcc, s66, v10
	v_cndmask_b32_e32 v10, v3, v11, vcc
	v_mov_b32_e32 v11, v2
.LBB3_16:                               ;   in Loop: Header=BB3_4 Depth=1
	s_or_b64 exec, exec, s[0:1]
	v_mul_lo_u32 v3, v7, s14
	v_mul_lo_u32 v7, v6, s15
	v_mad_u64_u32 v[12:13], s[0:1], v6, s14, 0
	v_add3_u32 v13, v13, v7, v3
	v_sub_co_u32_e32 v3, vcc, v4, v12
	v_subb_co_u32_e32 v6, vcc, v5, v13, vcc
	v_mov_b32_e32 v7, s23
	v_add_co_u32_e32 v14, vcc, s22, v3
	v_addc_co_u32_e32 v15, vcc, v6, v7, vcc
	v_cmp_lt_i64_e32 vcc, s[6:7], v[14:15]
	v_mov_b32_e32 v6, 0
	v_mov_b32_e32 v7, 0
	s_and_saveexec_b64 s[2:3], vcc
	s_cbranch_execz .LBB3_22
; %bb.17:                               ;   in Loop: Header=BB3_4 Depth=1
	v_mov_b32_e32 v3, s45
	v_add_co_u32_e32 v16, vcc, s44, v14
	v_addc_co_u32_e32 v17, vcc, v15, v3, vcc
	v_or_b32_e32 v3, s27, v17
	v_cmp_ne_u64_e32 vcc, 0, v[2:3]
                                        ; implicit-def: $vgpr6_vgpr7
	s_and_saveexec_b64 s[0:1], vcc
	s_xor_b64 s[4:5], exec, s[0:1]
	s_cbranch_execz .LBB3_19
; %bb.18:                               ;   in Loop: Header=BB3_4 Depth=1
	s_ashr_i32 s50, s27, 31
	s_add_u32 s0, s26, s50
	s_mov_b32 s51, s50
	s_addc_u32 s1, s27, s50
	s_xor_b64 s[52:53], s[0:1], s[50:51]
	v_cvt_f32_u32_e32 v3, s52
	v_cvt_f32_u32_e32 v6, s53
	s_sub_u32 s51, 0, s52
	s_subb_u32 s54, 0, s53
	v_mac_f32_e32 v3, 0x4f800000, v6
	v_rcp_f32_e32 v3, v3
	v_mul_f32_e32 v3, 0x5f7ffffc, v3
	v_mul_f32_e32 v6, 0x2f800000, v3
	v_trunc_f32_e32 v6, v6
	v_mac_f32_e32 v3, 0xcf800000, v6
	v_cvt_u32_f32_e32 v6, v6
	v_cvt_u32_f32_e32 v3, v3
	v_readfirstlane_b32 s55, v6
	v_readfirstlane_b32 s0, v3
	s_mul_i32 s1, s51, s55
	s_mul_hi_u32 s57, s51, s0
	s_mul_i32 s56, s54, s0
	s_add_i32 s1, s57, s1
	s_add_i32 s1, s1, s56
	s_mul_i32 s58, s51, s0
	s_mul_i32 s57, s0, s1
	s_mul_hi_u32 s59, s0, s58
	s_mul_hi_u32 s56, s0, s1
	s_add_u32 s57, s59, s57
	s_addc_u32 s56, 0, s56
	s_mul_hi_u32 s60, s55, s58
	s_mul_i32 s58, s55, s58
	s_add_u32 s57, s57, s58
	s_mul_hi_u32 s59, s55, s1
	s_addc_u32 s56, s56, s60
	s_addc_u32 s57, s59, 0
	s_mul_i32 s1, s55, s1
	s_add_u32 s1, s56, s1
	s_addc_u32 s56, 0, s57
	s_add_u32 s57, s0, s1
	s_cselect_b64 s[0:1], -1, 0
	s_cmp_lg_u64 s[0:1], 0
	s_addc_u32 s55, s55, s56
	s_mul_i32 s0, s51, s55
	s_mul_hi_u32 s1, s51, s57
	s_add_i32 s0, s1, s0
	s_mul_i32 s54, s54, s57
	s_add_i32 s0, s0, s54
	s_mul_i32 s51, s51, s57
	s_mul_hi_u32 s54, s55, s51
	s_mul_i32 s56, s55, s51
	s_mul_i32 s59, s57, s0
	s_mul_hi_u32 s51, s57, s51
	s_mul_hi_u32 s58, s57, s0
	s_add_u32 s51, s51, s59
	s_addc_u32 s58, 0, s58
	s_add_u32 s51, s51, s56
	s_mul_hi_u32 s1, s55, s0
	s_addc_u32 s51, s58, s54
	s_addc_u32 s1, s1, 0
	s_mul_i32 s0, s55, s0
	s_add_u32 s0, s51, s0
	s_addc_u32 s51, 0, s1
	s_add_u32 s54, s57, s0
	s_cselect_b64 s[0:1], -1, 0
	v_ashrrev_i32_e32 v3, 31, v17
	s_cmp_lg_u64 s[0:1], 0
	v_add_co_u32_e32 v6, vcc, v16, v3
	s_addc_u32 s51, s55, s51
	v_xor_b32_e32 v18, v6, v3
	v_addc_co_u32_e32 v16, vcc, v17, v3, vcc
	v_mad_u64_u32 v[6:7], s[0:1], v18, s51, 0
	v_mul_hi_u32 v17, v18, s54
	v_xor_b32_e32 v19, v16, v3
	v_xor_b32_e32 v3, s50, v3
	v_add_co_u32_e32 v20, vcc, v17, v6
	v_addc_co_u32_e32 v21, vcc, 0, v7, vcc
	v_mad_u64_u32 v[6:7], s[0:1], v19, s54, 0
	v_mad_u64_u32 v[16:17], s[0:1], v19, s51, 0
	v_add_co_u32_e32 v6, vcc, v20, v6
	v_addc_co_u32_e32 v6, vcc, v21, v7, vcc
	v_addc_co_u32_e32 v7, vcc, 0, v17, vcc
	v_add_co_u32_e32 v16, vcc, v6, v16
	v_addc_co_u32_e32 v17, vcc, 0, v7, vcc
	v_mul_lo_u32 v20, s53, v16
	v_mul_lo_u32 v21, s52, v17
	v_mad_u64_u32 v[6:7], s[0:1], s52, v16, 0
	v_add3_u32 v7, v7, v21, v20
	v_sub_u32_e32 v20, v19, v7
	v_mov_b32_e32 v21, s53
	v_sub_co_u32_e32 v6, vcc, v18, v6
	v_subb_co_u32_e64 v18, s[0:1], v20, v21, vcc
	v_subrev_co_u32_e64 v20, s[0:1], s52, v6
	v_subbrev_co_u32_e64 v18, s[0:1], 0, v18, s[0:1]
	v_cmp_le_u32_e64 s[0:1], s53, v18
	v_cndmask_b32_e64 v21, 0, -1, s[0:1]
	v_cmp_le_u32_e64 s[0:1], s52, v20
	v_cndmask_b32_e64 v20, 0, -1, s[0:1]
	v_cmp_eq_u32_e64 s[0:1], s53, v18
	v_cndmask_b32_e64 v18, v21, v20, s[0:1]
	v_add_co_u32_e64 v20, s[0:1], 2, v16
	v_subb_co_u32_e32 v7, vcc, v19, v7, vcc
	v_addc_co_u32_e64 v21, s[0:1], 0, v17, s[0:1]
	v_cmp_le_u32_e32 vcc, s53, v7
	v_add_co_u32_e64 v22, s[0:1], 1, v16
	v_cndmask_b32_e64 v19, 0, -1, vcc
	v_cmp_le_u32_e32 vcc, s52, v6
	v_addc_co_u32_e64 v23, s[0:1], 0, v17, s[0:1]
	v_cndmask_b32_e64 v6, 0, -1, vcc
	v_cmp_eq_u32_e32 vcc, s53, v7
	v_cmp_ne_u32_e64 s[0:1], 0, v18
	v_cndmask_b32_e32 v6, v19, v6, vcc
	v_cndmask_b32_e64 v18, v23, v21, s[0:1]
	v_cmp_ne_u32_e32 vcc, 0, v6
	v_cndmask_b32_e64 v7, v22, v20, s[0:1]
	v_cndmask_b32_e32 v6, v17, v18, vcc
	v_cndmask_b32_e32 v7, v16, v7, vcc
	v_xor_b32_e32 v16, v6, v3
	v_xor_b32_e32 v6, v7, v3
	v_sub_co_u32_e32 v6, vcc, v6, v3
	v_subb_co_u32_e32 v7, vcc, v16, v3, vcc
                                        ; implicit-def: $vgpr16
.LBB3_19:                               ;   in Loop: Header=BB3_4 Depth=1
	s_andn2_saveexec_b64 s[0:1], s[4:5]
	s_cbranch_execz .LBB3_21
; %bb.20:                               ;   in Loop: Header=BB3_4 Depth=1
	v_cvt_f32_u32_e32 v3, s26
	s_sub_i32 s4, 0, s26
	v_rcp_iflag_f32_e32 v3, v3
	v_mul_f32_e32 v3, 0x4f7ffffe, v3
	v_cvt_u32_f32_e32 v3, v3
	v_mul_lo_u32 v6, s4, v3
	v_mul_hi_u32 v6, v3, v6
	v_add_u32_e32 v3, v3, v6
	v_mul_hi_u32 v3, v16, v3
	v_mul_lo_u32 v6, v3, s26
	v_add_u32_e32 v7, 1, v3
	v_sub_u32_e32 v6, v16, v6
	v_subrev_u32_e32 v16, s26, v6
	v_cmp_le_u32_e32 vcc, s26, v6
	v_cndmask_b32_e32 v6, v6, v16, vcc
	v_cndmask_b32_e32 v3, v3, v7, vcc
	v_add_u32_e32 v7, 1, v3
	v_cmp_le_u32_e32 vcc, s26, v6
	v_cndmask_b32_e32 v6, v3, v7, vcc
	v_mov_b32_e32 v7, v2
.LBB3_21:                               ;   in Loop: Header=BB3_4 Depth=1
	s_or_b64 exec, exec, s[0:1]
	v_add_co_u32_e32 v6, vcc, 1, v6
	v_addc_co_u32_e32 v7, vcc, 0, v7, vcc
.LBB3_22:                               ;   in Loop: Header=BB3_4 Depth=1
	s_or_b64 exec, exec, s[2:3]
	v_or_b32_e32 v3, s27, v15
	v_cmp_ne_u64_e32 vcc, 0, v[2:3]
                                        ; implicit-def: $vgpr18_vgpr19
	s_and_saveexec_b64 s[0:1], vcc
	s_xor_b64 s[2:3], exec, s[0:1]
	s_cbranch_execz .LBB3_24
; %bb.23:                               ;   in Loop: Header=BB3_4 Depth=1
	s_ashr_i32 s4, s27, 31
	s_add_u32 s0, s26, s4
	s_mov_b32 s5, s4
	s_addc_u32 s1, s27, s4
	s_xor_b64 s[50:51], s[0:1], s[4:5]
	v_cvt_f32_u32_e32 v3, s50
	v_cvt_f32_u32_e32 v16, s51
	s_sub_u32 s5, 0, s50
	s_subb_u32 s52, 0, s51
	v_mac_f32_e32 v3, 0x4f800000, v16
	v_rcp_f32_e32 v3, v3
	v_mul_f32_e32 v3, 0x5f7ffffc, v3
	v_mul_f32_e32 v16, 0x2f800000, v3
	v_trunc_f32_e32 v16, v16
	v_mac_f32_e32 v3, 0xcf800000, v16
	v_cvt_u32_f32_e32 v16, v16
	v_cvt_u32_f32_e32 v3, v3
	v_readfirstlane_b32 s53, v16
	v_readfirstlane_b32 s0, v3
	s_mul_i32 s1, s5, s53
	s_mul_hi_u32 s55, s5, s0
	s_mul_i32 s54, s52, s0
	s_add_i32 s1, s55, s1
	s_add_i32 s1, s1, s54
	s_mul_i32 s56, s5, s0
	s_mul_i32 s55, s0, s1
	s_mul_hi_u32 s57, s0, s56
	s_mul_hi_u32 s54, s0, s1
	s_add_u32 s55, s57, s55
	s_addc_u32 s54, 0, s54
	s_mul_hi_u32 s58, s53, s56
	s_mul_i32 s56, s53, s56
	s_add_u32 s55, s55, s56
	s_mul_hi_u32 s57, s53, s1
	s_addc_u32 s54, s54, s58
	s_addc_u32 s55, s57, 0
	s_mul_i32 s1, s53, s1
	s_add_u32 s1, s54, s1
	s_addc_u32 s54, 0, s55
	s_add_u32 s55, s0, s1
	s_cselect_b64 s[0:1], -1, 0
	s_cmp_lg_u64 s[0:1], 0
	s_addc_u32 s53, s53, s54
	s_mul_i32 s0, s5, s53
	s_mul_hi_u32 s1, s5, s55
	s_add_i32 s0, s1, s0
	s_mul_i32 s52, s52, s55
	s_add_i32 s0, s0, s52
	s_mul_i32 s5, s5, s55
	s_mul_hi_u32 s52, s53, s5
	s_mul_i32 s54, s53, s5
	s_mul_i32 s57, s55, s0
	s_mul_hi_u32 s5, s55, s5
	s_mul_hi_u32 s56, s55, s0
	s_add_u32 s5, s5, s57
	s_addc_u32 s56, 0, s56
	s_add_u32 s5, s5, s54
	s_mul_hi_u32 s1, s53, s0
	s_addc_u32 s5, s56, s52
	s_addc_u32 s1, s1, 0
	s_mul_i32 s0, s53, s0
	s_add_u32 s0, s5, s0
	s_addc_u32 s5, 0, s1
	s_add_u32 s52, s55, s0
	s_cselect_b64 s[0:1], -1, 0
	v_ashrrev_i32_e32 v3, 31, v15
	s_cmp_lg_u64 s[0:1], 0
	v_add_co_u32_e32 v14, vcc, v14, v3
	s_addc_u32 s5, s53, s5
	v_xor_b32_e32 v18, v14, v3
	v_addc_co_u32_e32 v16, vcc, v15, v3, vcc
	v_mad_u64_u32 v[14:15], s[0:1], v18, s5, 0
	v_mul_hi_u32 v17, v18, s52
	v_xor_b32_e32 v19, v16, v3
	v_xor_b32_e32 v3, s4, v3
	v_add_co_u32_e32 v20, vcc, v17, v14
	v_addc_co_u32_e32 v21, vcc, 0, v15, vcc
	v_mad_u64_u32 v[14:15], s[0:1], v19, s52, 0
	v_mad_u64_u32 v[16:17], s[0:1], v19, s5, 0
	v_add_co_u32_e32 v14, vcc, v20, v14
	v_addc_co_u32_e32 v14, vcc, v21, v15, vcc
	v_addc_co_u32_e32 v15, vcc, 0, v17, vcc
	v_add_co_u32_e32 v16, vcc, v14, v16
	v_addc_co_u32_e32 v17, vcc, 0, v15, vcc
	v_mul_lo_u32 v20, s51, v16
	v_mul_lo_u32 v21, s50, v17
	v_mad_u64_u32 v[14:15], s[0:1], s50, v16, 0
	v_add3_u32 v15, v15, v21, v20
	v_sub_u32_e32 v20, v19, v15
	v_mov_b32_e32 v21, s51
	v_sub_co_u32_e32 v14, vcc, v18, v14
	v_subb_co_u32_e64 v18, s[0:1], v20, v21, vcc
	v_subrev_co_u32_e64 v20, s[0:1], s50, v14
	v_subbrev_co_u32_e64 v18, s[0:1], 0, v18, s[0:1]
	v_cmp_le_u32_e64 s[0:1], s51, v18
	v_cndmask_b32_e64 v21, 0, -1, s[0:1]
	v_cmp_le_u32_e64 s[0:1], s50, v20
	v_cndmask_b32_e64 v20, 0, -1, s[0:1]
	v_cmp_eq_u32_e64 s[0:1], s51, v18
	v_cndmask_b32_e64 v18, v21, v20, s[0:1]
	v_add_co_u32_e64 v20, s[0:1], 2, v16
	v_subb_co_u32_e32 v15, vcc, v19, v15, vcc
	v_addc_co_u32_e64 v21, s[0:1], 0, v17, s[0:1]
	v_cmp_le_u32_e32 vcc, s51, v15
	v_add_co_u32_e64 v22, s[0:1], 1, v16
	v_cndmask_b32_e64 v19, 0, -1, vcc
	v_cmp_le_u32_e32 vcc, s50, v14
	v_addc_co_u32_e64 v23, s[0:1], 0, v17, s[0:1]
	v_cndmask_b32_e64 v14, 0, -1, vcc
	v_cmp_eq_u32_e32 vcc, s51, v15
	v_cmp_ne_u32_e64 s[0:1], 0, v18
	v_cndmask_b32_e32 v14, v19, v14, vcc
	v_cmp_ne_u32_e32 vcc, 0, v14
	v_cndmask_b32_e64 v15, v22, v20, s[0:1]
	v_cndmask_b32_e64 v18, v23, v21, s[0:1]
	v_cndmask_b32_e32 v15, v16, v15, vcc
	v_cndmask_b32_e32 v14, v17, v18, vcc
	v_xor_b32_e32 v15, v15, v3
	v_xor_b32_e32 v14, v14, v3
	v_sub_co_u32_e32 v18, vcc, v15, v3
	v_subb_co_u32_e32 v19, vcc, v14, v3, vcc
                                        ; implicit-def: $vgpr14
.LBB3_24:                               ;   in Loop: Header=BB3_4 Depth=1
	s_andn2_saveexec_b64 s[0:1], s[2:3]
	s_cbranch_execz .LBB3_26
; %bb.25:                               ;   in Loop: Header=BB3_4 Depth=1
	v_cvt_f32_u32_e32 v3, s26
	s_sub_i32 s2, 0, s26
	v_mov_b32_e32 v19, v2
	v_rcp_iflag_f32_e32 v3, v3
	v_mul_f32_e32 v3, 0x4f7ffffe, v3
	v_cvt_u32_f32_e32 v3, v3
	v_mul_lo_u32 v15, s2, v3
	v_mul_hi_u32 v15, v3, v15
	v_add_u32_e32 v3, v3, v15
	v_mul_hi_u32 v3, v14, v3
	v_mul_lo_u32 v15, v3, s26
	v_add_u32_e32 v16, 1, v3
	v_sub_u32_e32 v14, v14, v15
	v_subrev_u32_e32 v15, s26, v14
	v_cmp_le_u32_e32 vcc, s26, v14
	v_cndmask_b32_e32 v14, v14, v15, vcc
	v_cndmask_b32_e32 v3, v3, v16, vcc
	v_add_u32_e32 v15, 1, v3
	v_cmp_le_u32_e32 vcc, s26, v14
	v_cndmask_b32_e32 v18, v3, v15, vcc
.LBB3_26:                               ;   in Loop: Header=BB3_4 Depth=1
	s_or_b64 exec, exec, s[0:1]
	v_mov_b32_e32 v3, s21
	v_add_co_u32_e32 v8, vcc, s20, v8
	v_addc_co_u32_e32 v9, vcc, v9, v3, vcc
	v_cmp_lt_i64_e32 vcc, s[34:35], v[8:9]
	v_mov_b32_e32 v14, 0
	v_mov_b32_e32 v15, 0
	s_and_saveexec_b64 s[2:3], vcc
	s_cbranch_execz .LBB3_32
; %bb.27:                               ;   in Loop: Header=BB3_4 Depth=1
	v_mov_b32_e32 v3, s43
	v_add_co_u32_e32 v16, vcc, s42, v8
	v_addc_co_u32_e32 v17, vcc, v9, v3, vcc
	v_or_b32_e32 v3, s25, v17
	v_cmp_ne_u64_e32 vcc, 0, v[2:3]
                                        ; implicit-def: $vgpr14_vgpr15
	s_and_saveexec_b64 s[0:1], vcc
	s_xor_b64 s[4:5], exec, s[0:1]
	s_cbranch_execz .LBB3_29
; %bb.28:                               ;   in Loop: Header=BB3_4 Depth=1
	s_ashr_i32 s50, s25, 31
	s_add_u32 s0, s24, s50
	s_mov_b32 s51, s50
	s_addc_u32 s1, s25, s50
	s_xor_b64 s[52:53], s[0:1], s[50:51]
	v_cvt_f32_u32_e32 v3, s52
	v_cvt_f32_u32_e32 v14, s53
	s_sub_u32 s51, 0, s52
	s_subb_u32 s54, 0, s53
	v_mac_f32_e32 v3, 0x4f800000, v14
	v_rcp_f32_e32 v3, v3
	v_mul_f32_e32 v3, 0x5f7ffffc, v3
	v_mul_f32_e32 v14, 0x2f800000, v3
	v_trunc_f32_e32 v14, v14
	v_mac_f32_e32 v3, 0xcf800000, v14
	v_cvt_u32_f32_e32 v14, v14
	v_cvt_u32_f32_e32 v3, v3
	v_readfirstlane_b32 s55, v14
	v_readfirstlane_b32 s0, v3
	s_mul_i32 s1, s51, s55
	s_mul_hi_u32 s57, s51, s0
	s_mul_i32 s56, s54, s0
	s_add_i32 s1, s57, s1
	s_add_i32 s1, s1, s56
	s_mul_i32 s58, s51, s0
	s_mul_i32 s57, s0, s1
	s_mul_hi_u32 s59, s0, s58
	s_mul_hi_u32 s56, s0, s1
	s_add_u32 s57, s59, s57
	s_addc_u32 s56, 0, s56
	s_mul_hi_u32 s60, s55, s58
	s_mul_i32 s58, s55, s58
	s_add_u32 s57, s57, s58
	s_mul_hi_u32 s59, s55, s1
	s_addc_u32 s56, s56, s60
	s_addc_u32 s57, s59, 0
	s_mul_i32 s1, s55, s1
	s_add_u32 s1, s56, s1
	s_addc_u32 s56, 0, s57
	s_add_u32 s57, s0, s1
	s_cselect_b64 s[0:1], -1, 0
	s_cmp_lg_u64 s[0:1], 0
	s_addc_u32 s55, s55, s56
	s_mul_i32 s0, s51, s55
	s_mul_hi_u32 s1, s51, s57
	s_add_i32 s0, s1, s0
	s_mul_i32 s54, s54, s57
	s_add_i32 s0, s0, s54
	s_mul_i32 s51, s51, s57
	s_mul_hi_u32 s54, s55, s51
	s_mul_i32 s56, s55, s51
	s_mul_i32 s59, s57, s0
	s_mul_hi_u32 s51, s57, s51
	s_mul_hi_u32 s58, s57, s0
	s_add_u32 s51, s51, s59
	s_addc_u32 s58, 0, s58
	s_add_u32 s51, s51, s56
	s_mul_hi_u32 s1, s55, s0
	s_addc_u32 s51, s58, s54
	s_addc_u32 s1, s1, 0
	s_mul_i32 s0, s55, s0
	s_add_u32 s0, s51, s0
	s_addc_u32 s51, 0, s1
	s_add_u32 s54, s57, s0
	s_cselect_b64 s[0:1], -1, 0
	v_ashrrev_i32_e32 v3, 31, v17
	s_cmp_lg_u64 s[0:1], 0
	v_add_co_u32_e32 v14, vcc, v16, v3
	s_addc_u32 s51, s55, s51
	v_xor_b32_e32 v20, v14, v3
	v_addc_co_u32_e32 v16, vcc, v17, v3, vcc
	v_mad_u64_u32 v[14:15], s[0:1], v20, s51, 0
	v_mul_hi_u32 v17, v20, s54
	v_xor_b32_e32 v21, v16, v3
	v_xor_b32_e32 v3, s50, v3
	v_add_co_u32_e32 v22, vcc, v17, v14
	v_addc_co_u32_e32 v23, vcc, 0, v15, vcc
	v_mad_u64_u32 v[14:15], s[0:1], v21, s54, 0
	v_mad_u64_u32 v[16:17], s[0:1], v21, s51, 0
	v_add_co_u32_e32 v14, vcc, v22, v14
	v_addc_co_u32_e32 v14, vcc, v23, v15, vcc
	v_addc_co_u32_e32 v15, vcc, 0, v17, vcc
	v_add_co_u32_e32 v16, vcc, v14, v16
	v_addc_co_u32_e32 v17, vcc, 0, v15, vcc
	v_mul_lo_u32 v22, s53, v16
	v_mul_lo_u32 v23, s52, v17
	v_mad_u64_u32 v[14:15], s[0:1], s52, v16, 0
	v_add3_u32 v15, v15, v23, v22
	v_sub_u32_e32 v22, v21, v15
	v_mov_b32_e32 v23, s53
	v_sub_co_u32_e32 v14, vcc, v20, v14
	v_subb_co_u32_e64 v20, s[0:1], v22, v23, vcc
	v_subrev_co_u32_e64 v22, s[0:1], s52, v14
	v_subbrev_co_u32_e64 v20, s[0:1], 0, v20, s[0:1]
	v_cmp_le_u32_e64 s[0:1], s53, v20
	v_cndmask_b32_e64 v23, 0, -1, s[0:1]
	v_cmp_le_u32_e64 s[0:1], s52, v22
	v_cndmask_b32_e64 v22, 0, -1, s[0:1]
	v_cmp_eq_u32_e64 s[0:1], s53, v20
	v_cndmask_b32_e64 v20, v23, v22, s[0:1]
	v_add_co_u32_e64 v22, s[0:1], 2, v16
	v_subb_co_u32_e32 v15, vcc, v21, v15, vcc
	v_addc_co_u32_e64 v23, s[0:1], 0, v17, s[0:1]
	v_cmp_le_u32_e32 vcc, s53, v15
	v_add_co_u32_e64 v24, s[0:1], 1, v16
	v_cndmask_b32_e64 v21, 0, -1, vcc
	v_cmp_le_u32_e32 vcc, s52, v14
	v_addc_co_u32_e64 v25, s[0:1], 0, v17, s[0:1]
	v_cndmask_b32_e64 v14, 0, -1, vcc
	v_cmp_eq_u32_e32 vcc, s53, v15
	v_cmp_ne_u32_e64 s[0:1], 0, v20
	v_cndmask_b32_e32 v14, v21, v14, vcc
	v_cndmask_b32_e64 v20, v25, v23, s[0:1]
	v_cmp_ne_u32_e32 vcc, 0, v14
	v_cndmask_b32_e64 v15, v24, v22, s[0:1]
	v_cndmask_b32_e32 v14, v17, v20, vcc
	v_cndmask_b32_e32 v15, v16, v15, vcc
	v_xor_b32_e32 v16, v14, v3
	v_xor_b32_e32 v14, v15, v3
	v_sub_co_u32_e32 v14, vcc, v14, v3
	v_subb_co_u32_e32 v15, vcc, v16, v3, vcc
                                        ; implicit-def: $vgpr16
.LBB3_29:                               ;   in Loop: Header=BB3_4 Depth=1
	s_andn2_saveexec_b64 s[0:1], s[4:5]
	s_cbranch_execz .LBB3_31
; %bb.30:                               ;   in Loop: Header=BB3_4 Depth=1
	v_cvt_f32_u32_e32 v3, s24
	s_sub_i32 s4, 0, s24
	v_rcp_iflag_f32_e32 v3, v3
	v_mul_f32_e32 v3, 0x4f7ffffe, v3
	v_cvt_u32_f32_e32 v3, v3
	v_mul_lo_u32 v14, s4, v3
	v_mul_hi_u32 v14, v3, v14
	v_add_u32_e32 v3, v3, v14
	v_mul_hi_u32 v3, v16, v3
	v_mul_lo_u32 v14, v3, s24
	v_add_u32_e32 v15, 1, v3
	v_sub_u32_e32 v14, v16, v14
	v_subrev_u32_e32 v16, s24, v14
	v_cmp_le_u32_e32 vcc, s24, v14
	v_cndmask_b32_e32 v14, v14, v16, vcc
	v_cndmask_b32_e32 v3, v3, v15, vcc
	v_add_u32_e32 v15, 1, v3
	v_cmp_le_u32_e32 vcc, s24, v14
	v_cndmask_b32_e32 v14, v3, v15, vcc
	v_mov_b32_e32 v15, v2
.LBB3_31:                               ;   in Loop: Header=BB3_4 Depth=1
	s_or_b64 exec, exec, s[0:1]
	v_add_co_u32_e32 v14, vcc, 1, v14
	v_addc_co_u32_e32 v15, vcc, 0, v15, vcc
.LBB3_32:                               ;   in Loop: Header=BB3_4 Depth=1
	s_or_b64 exec, exec, s[2:3]
	v_or_b32_e32 v3, s25, v9
	v_cmp_ne_u64_e32 vcc, 0, v[2:3]
                                        ; implicit-def: $vgpr16_vgpr17
	s_and_saveexec_b64 s[0:1], vcc
	s_xor_b64 s[2:3], exec, s[0:1]
	s_cbranch_execz .LBB3_34
; %bb.33:                               ;   in Loop: Header=BB3_4 Depth=1
	s_ashr_i32 s4, s25, 31
	s_add_u32 s0, s24, s4
	s_mov_b32 s5, s4
	s_addc_u32 s1, s25, s4
	s_xor_b64 s[50:51], s[0:1], s[4:5]
	v_cvt_f32_u32_e32 v3, s50
	v_cvt_f32_u32_e32 v16, s51
	s_sub_u32 s5, 0, s50
	s_subb_u32 s52, 0, s51
	v_mac_f32_e32 v3, 0x4f800000, v16
	v_rcp_f32_e32 v3, v3
	v_mul_f32_e32 v3, 0x5f7ffffc, v3
	v_mul_f32_e32 v16, 0x2f800000, v3
	v_trunc_f32_e32 v16, v16
	v_mac_f32_e32 v3, 0xcf800000, v16
	v_cvt_u32_f32_e32 v16, v16
	v_cvt_u32_f32_e32 v3, v3
	v_readfirstlane_b32 s53, v16
	v_readfirstlane_b32 s0, v3
	s_mul_i32 s1, s5, s53
	s_mul_hi_u32 s55, s5, s0
	s_mul_i32 s54, s52, s0
	s_add_i32 s1, s55, s1
	s_add_i32 s1, s1, s54
	s_mul_i32 s56, s5, s0
	s_mul_i32 s55, s0, s1
	s_mul_hi_u32 s57, s0, s56
	s_mul_hi_u32 s54, s0, s1
	s_add_u32 s55, s57, s55
	s_addc_u32 s54, 0, s54
	s_mul_hi_u32 s58, s53, s56
	s_mul_i32 s56, s53, s56
	s_add_u32 s55, s55, s56
	s_mul_hi_u32 s57, s53, s1
	s_addc_u32 s54, s54, s58
	s_addc_u32 s55, s57, 0
	s_mul_i32 s1, s53, s1
	s_add_u32 s1, s54, s1
	s_addc_u32 s54, 0, s55
	s_add_u32 s55, s0, s1
	s_cselect_b64 s[0:1], -1, 0
	s_cmp_lg_u64 s[0:1], 0
	s_addc_u32 s53, s53, s54
	s_mul_i32 s0, s5, s53
	s_mul_hi_u32 s1, s5, s55
	s_add_i32 s0, s1, s0
	s_mul_i32 s52, s52, s55
	s_add_i32 s0, s0, s52
	s_mul_i32 s5, s5, s55
	s_mul_hi_u32 s52, s53, s5
	s_mul_i32 s54, s53, s5
	s_mul_i32 s57, s55, s0
	s_mul_hi_u32 s5, s55, s5
	s_mul_hi_u32 s56, s55, s0
	s_add_u32 s5, s5, s57
	s_addc_u32 s56, 0, s56
	s_add_u32 s5, s5, s54
	s_mul_hi_u32 s1, s53, s0
	s_addc_u32 s5, s56, s52
	s_addc_u32 s1, s1, 0
	s_mul_i32 s0, s53, s0
	s_add_u32 s0, s5, s0
	s_addc_u32 s5, 0, s1
	s_add_u32 s52, s55, s0
	s_cselect_b64 s[0:1], -1, 0
	v_ashrrev_i32_e32 v3, 31, v9
	s_cmp_lg_u64 s[0:1], 0
	v_add_co_u32_e32 v16, vcc, v8, v3
	s_addc_u32 s5, s53, s5
	v_xor_b32_e32 v22, v16, v3
	v_mad_u64_u32 v[16:17], s[0:1], v22, s5, 0
	v_mul_hi_u32 v21, v22, s52
	v_addc_co_u32_e32 v20, vcc, v9, v3, vcc
	v_xor_b32_e32 v23, v20, v3
	v_add_co_u32_e32 v24, vcc, v21, v16
	v_addc_co_u32_e32 v25, vcc, 0, v17, vcc
	v_mad_u64_u32 v[16:17], s[0:1], v23, s52, 0
	v_mad_u64_u32 v[20:21], s[0:1], v23, s5, 0
	v_add_co_u32_e32 v16, vcc, v24, v16
	v_addc_co_u32_e32 v16, vcc, v25, v17, vcc
	v_addc_co_u32_e32 v17, vcc, 0, v21, vcc
	v_add_co_u32_e32 v20, vcc, v16, v20
	v_addc_co_u32_e32 v21, vcc, 0, v17, vcc
	v_mul_lo_u32 v24, s51, v20
	v_mul_lo_u32 v25, s50, v21
	v_mad_u64_u32 v[16:17], s[0:1], s50, v20, 0
	v_xor_b32_e32 v3, s4, v3
	v_add3_u32 v17, v17, v25, v24
	v_sub_u32_e32 v24, v23, v17
	v_mov_b32_e32 v25, s51
	v_sub_co_u32_e32 v16, vcc, v22, v16
	v_subb_co_u32_e64 v22, s[0:1], v24, v25, vcc
	v_subrev_co_u32_e64 v24, s[0:1], s50, v16
	v_subbrev_co_u32_e64 v22, s[0:1], 0, v22, s[0:1]
	v_cmp_le_u32_e64 s[0:1], s51, v22
	v_cndmask_b32_e64 v25, 0, -1, s[0:1]
	v_cmp_le_u32_e64 s[0:1], s50, v24
	v_cndmask_b32_e64 v24, 0, -1, s[0:1]
	v_cmp_eq_u32_e64 s[0:1], s51, v22
	v_cndmask_b32_e64 v22, v25, v24, s[0:1]
	v_add_co_u32_e64 v24, s[0:1], 2, v20
	v_subb_co_u32_e32 v17, vcc, v23, v17, vcc
	v_addc_co_u32_e64 v25, s[0:1], 0, v21, s[0:1]
	v_cmp_le_u32_e32 vcc, s51, v17
	v_add_co_u32_e64 v26, s[0:1], 1, v20
	v_cndmask_b32_e64 v23, 0, -1, vcc
	v_cmp_le_u32_e32 vcc, s50, v16
	v_addc_co_u32_e64 v27, s[0:1], 0, v21, s[0:1]
	v_cndmask_b32_e64 v16, 0, -1, vcc
	v_cmp_eq_u32_e32 vcc, s51, v17
	v_cmp_ne_u32_e64 s[0:1], 0, v22
	v_cndmask_b32_e32 v16, v23, v16, vcc
	v_cndmask_b32_e64 v22, v27, v25, s[0:1]
	v_cmp_ne_u32_e32 vcc, 0, v16
	v_cndmask_b32_e64 v17, v26, v24, s[0:1]
	v_cndmask_b32_e32 v16, v21, v22, vcc
	v_cndmask_b32_e32 v17, v20, v17, vcc
	v_xor_b32_e32 v20, v16, v3
	v_xor_b32_e32 v16, v17, v3
	v_sub_co_u32_e32 v16, vcc, v16, v3
	v_subb_co_u32_e32 v17, vcc, v20, v3, vcc
.LBB3_34:                               ;   in Loop: Header=BB3_4 Depth=1
	s_andn2_saveexec_b64 s[0:1], s[2:3]
	s_cbranch_execz .LBB3_36
; %bb.35:                               ;   in Loop: Header=BB3_4 Depth=1
	v_cvt_f32_u32_e32 v3, s24
	s_sub_i32 s2, 0, s24
	v_rcp_iflag_f32_e32 v3, v3
	v_mul_f32_e32 v3, 0x4f7ffffe, v3
	v_cvt_u32_f32_e32 v3, v3
	v_mul_lo_u32 v16, s2, v3
	v_mul_hi_u32 v16, v3, v16
	v_add_u32_e32 v3, v3, v16
	v_mul_hi_u32 v3, v8, v3
	v_mul_lo_u32 v16, v3, s24
	v_add_u32_e32 v17, 1, v3
	v_sub_u32_e32 v16, v8, v16
	v_subrev_u32_e32 v20, s24, v16
	v_cmp_le_u32_e32 vcc, s24, v16
	v_cndmask_b32_e32 v16, v16, v20, vcc
	v_cndmask_b32_e32 v3, v3, v17, vcc
	v_add_u32_e32 v17, 1, v3
	v_cmp_le_u32_e32 vcc, s24, v16
	v_cndmask_b32_e32 v16, v3, v17, vcc
	v_mov_b32_e32 v17, v2
.LBB3_36:                               ;   in Loop: Header=BB3_4 Depth=1
	s_or_b64 exec, exec, s[0:1]
	v_add_co_u32_e32 v16, vcc, 1, v16
	v_addc_co_u32_e32 v17, vcc, 0, v17, vcc
	v_cmp_gt_i64_e32 vcc, s[36:37], v[16:17]
	v_mov_b32_e32 v3, s37
	v_cndmask_b32_e32 v17, v3, v17, vcc
	v_mov_b32_e32 v3, s36
	v_cndmask_b32_e32 v16, v3, v16, vcc
	v_cmp_lt_i64_e32 vcc, v[14:15], v[16:17]
	v_mov_b32_e32 v33, 0
	s_and_saveexec_b64 s[50:51], vcc
	s_cbranch_execz .LBB3_3
; %bb.37:                               ;   in Loop: Header=BB3_4 Depth=1
	v_add_co_u32_e32 v18, vcc, 1, v18
	v_addc_co_u32_e32 v19, vcc, 0, v19, vcc
	v_cmp_gt_i64_e32 vcc, s[38:39], v[18:19]
	v_mov_b32_e32 v3, s39
	v_cndmask_b32_e32 v19, v3, v19, vcc
	v_mul_lo_u32 v3, v11, s16
	v_mul_lo_u32 v20, v10, s17
	v_mad_u64_u32 v[10:11], s[0:1], v10, s16, 0
	v_mov_b32_e32 v21, s38
	v_cndmask_b32_e32 v18, v21, v18, vcc
	v_add3_u32 v11, v11, v20, v3
	v_lshlrev_b64 v[20:21], 1, v[6:7]
	v_mov_b32_e32 v3, s11
	v_add_co_u32_e32 v20, vcc, s10, v20
	v_mul_lo_u32 v24, s27, v6
	v_mul_lo_u32 v25, s26, v7
	v_mad_u64_u32 v[22:23], s[2:3], s26, v6, 0
	v_addc_co_u32_e32 v21, vcc, v3, v21, vcc
	v_mov_b32_e32 v3, s23
	v_add_co_u32_e32 v26, vcc, s22, v4
	v_addc_co_u32_e32 v3, vcc, v3, v5, vcc
	v_add3_u32 v23, v23, v25, v24
	v_sub_co_u32_e32 v22, vcc, v26, v22
	v_subb_co_u32_e32 v3, vcc, v3, v23, vcc
	v_cmp_lt_i64_e64 s[0:1], v[6:7], v[18:19]
	v_sub_co_u32_e32 v12, vcc, v22, v12
	v_subb_co_u32_e32 v13, vcc, v3, v13, vcc
	v_mov_b32_e32 v33, 0
	s_mov_b64 s[52:53], 0
	s_branch .LBB3_40
.LBB3_38:                               ;   in Loop: Header=BB3_40 Depth=2
	s_or_b64 exec, exec, s[56:57]
.LBB3_39:                               ;   in Loop: Header=BB3_40 Depth=2
	s_or_b64 exec, exec, s[54:55]
	v_add_co_u32_e32 v14, vcc, 1, v14
	v_addc_co_u32_e32 v15, vcc, 0, v15, vcc
	v_cmp_ge_i64_e32 vcc, v[14:15], v[16:17]
	s_or_b64 s[52:53], vcc, s[52:53]
	s_andn2_b64 exec, exec, s[52:53]
	s_cbranch_execz .LBB3_2
.LBB3_40:                               ;   Parent Loop BB3_4 Depth=1
                                        ; =>  This Loop Header: Depth=2
                                        ;       Child Loop BB3_48 Depth 3
	s_and_saveexec_b64 s[54:55], s[0:1]
	s_cbranch_execz .LBB3_39
; %bb.41:                               ;   in Loop: Header=BB3_40 Depth=2
	v_mul_lo_u32 v3, v15, s24
	v_mul_lo_u32 v24, v14, s25
	v_mad_u64_u32 v[22:23], s[2:3], v14, s24, 0
	v_add3_u32 v3, v23, v24, v3
	v_sub_co_u32_e32 v24, vcc, v8, v22
	v_subb_co_u32_e32 v25, vcc, v9, v3, vcc
	v_or_b32_e32 v3, s29, v25
	v_cmp_ne_u64_e32 vcc, 0, v[2:3]
                                        ; implicit-def: $vgpr22_vgpr23
	s_and_saveexec_b64 s[2:3], vcc
	s_xor_b64 s[4:5], exec, s[2:3]
	s_cbranch_execz .LBB3_43
; %bb.42:                               ;   in Loop: Header=BB3_40 Depth=2
	s_ashr_i32 s56, s29, 31
	s_add_u32 s2, s28, s56
	s_mov_b32 s57, s56
	s_addc_u32 s3, s29, s56
	s_xor_b64 s[58:59], s[2:3], s[56:57]
	v_cvt_f32_u32_e32 v3, s58
	v_cvt_f32_u32_e32 v22, s59
	s_sub_u32 s57, 0, s58
	s_subb_u32 s60, 0, s59
	v_mac_f32_e32 v3, 0x4f800000, v22
	v_rcp_f32_e32 v3, v3
	v_mul_f32_e32 v3, 0x5f7ffffc, v3
	v_mul_f32_e32 v22, 0x2f800000, v3
	v_trunc_f32_e32 v22, v22
	v_mac_f32_e32 v3, 0xcf800000, v22
	v_cvt_u32_f32_e32 v22, v22
	v_cvt_u32_f32_e32 v3, v3
	v_readfirstlane_b32 s61, v22
	v_readfirstlane_b32 s2, v3
	s_mul_i32 s3, s57, s61
	s_mul_hi_u32 s63, s57, s2
	s_mul_i32 s62, s60, s2
	s_add_i32 s3, s63, s3
	s_add_i32 s3, s3, s62
	s_mul_i32 s64, s57, s2
	s_mul_i32 s63, s2, s3
	s_mul_hi_u32 s65, s2, s64
	s_mul_hi_u32 s62, s2, s3
	s_add_u32 s63, s65, s63
	s_addc_u32 s62, 0, s62
	s_mul_hi_u32 s69, s61, s64
	s_mul_i32 s64, s61, s64
	s_add_u32 s63, s63, s64
	s_mul_hi_u32 s65, s61, s3
	s_addc_u32 s62, s62, s69
	s_addc_u32 s63, s65, 0
	s_mul_i32 s3, s61, s3
	s_add_u32 s3, s62, s3
	s_addc_u32 s62, 0, s63
	s_add_u32 s63, s2, s3
	s_cselect_b64 s[2:3], -1, 0
	s_cmp_lg_u64 s[2:3], 0
	s_addc_u32 s61, s61, s62
	s_mul_i32 s2, s57, s61
	s_mul_hi_u32 s3, s57, s63
	s_add_i32 s2, s3, s2
	s_mul_i32 s60, s60, s63
	s_add_i32 s2, s2, s60
	s_mul_i32 s57, s57, s63
	s_mul_hi_u32 s60, s61, s57
	s_mul_i32 s62, s61, s57
	s_mul_i32 s65, s63, s2
	s_mul_hi_u32 s57, s63, s57
	s_mul_hi_u32 s64, s63, s2
	s_add_u32 s57, s57, s65
	s_addc_u32 s64, 0, s64
	s_add_u32 s57, s57, s62
	s_mul_hi_u32 s3, s61, s2
	s_addc_u32 s57, s64, s60
	s_addc_u32 s3, s3, 0
	s_mul_i32 s2, s61, s2
	s_add_u32 s2, s57, s2
	s_addc_u32 s57, 0, s3
	s_add_u32 s60, s63, s2
	s_cselect_b64 s[2:3], -1, 0
	v_ashrrev_i32_e32 v3, 31, v25
	s_cmp_lg_u64 s[2:3], 0
	v_add_co_u32_e32 v22, vcc, v24, v3
	s_addc_u32 s57, s61, s57
	v_xor_b32_e32 v28, v22, v3
	v_mad_u64_u32 v[22:23], s[2:3], v28, s57, 0
	v_mul_hi_u32 v27, v28, s60
	v_addc_co_u32_e32 v26, vcc, v25, v3, vcc
	v_xor_b32_e32 v29, v26, v3
	v_add_co_u32_e32 v30, vcc, v27, v22
	v_addc_co_u32_e32 v31, vcc, 0, v23, vcc
	v_mad_u64_u32 v[22:23], s[2:3], v29, s60, 0
	v_mad_u64_u32 v[26:27], s[2:3], v29, s57, 0
	v_add_co_u32_e32 v22, vcc, v30, v22
	v_addc_co_u32_e32 v22, vcc, v31, v23, vcc
	v_addc_co_u32_e32 v23, vcc, 0, v27, vcc
	v_add_co_u32_e32 v26, vcc, v22, v26
	v_addc_co_u32_e32 v27, vcc, 0, v23, vcc
	v_mul_lo_u32 v30, s59, v26
	v_mul_lo_u32 v31, s58, v27
	v_mad_u64_u32 v[22:23], s[2:3], s58, v26, 0
	v_xor_b32_e32 v3, s56, v3
	v_add3_u32 v23, v23, v31, v30
	v_sub_u32_e32 v30, v29, v23
	v_mov_b32_e32 v31, s59
	v_sub_co_u32_e32 v22, vcc, v28, v22
	v_subb_co_u32_e64 v28, s[2:3], v30, v31, vcc
	v_subrev_co_u32_e64 v30, s[2:3], s58, v22
	v_subbrev_co_u32_e64 v28, s[2:3], 0, v28, s[2:3]
	v_cmp_le_u32_e64 s[2:3], s59, v28
	v_cndmask_b32_e64 v31, 0, -1, s[2:3]
	v_cmp_le_u32_e64 s[2:3], s58, v30
	v_cndmask_b32_e64 v30, 0, -1, s[2:3]
	v_cmp_eq_u32_e64 s[2:3], s59, v28
	v_cndmask_b32_e64 v28, v31, v30, s[2:3]
	v_add_co_u32_e64 v30, s[2:3], 2, v26
	v_subb_co_u32_e32 v23, vcc, v29, v23, vcc
	v_addc_co_u32_e64 v31, s[2:3], 0, v27, s[2:3]
	v_cmp_le_u32_e32 vcc, s59, v23
	v_add_co_u32_e64 v34, s[2:3], 1, v26
	v_cndmask_b32_e64 v29, 0, -1, vcc
	v_cmp_le_u32_e32 vcc, s58, v22
	v_addc_co_u32_e64 v35, s[2:3], 0, v27, s[2:3]
	v_cndmask_b32_e64 v22, 0, -1, vcc
	v_cmp_eq_u32_e32 vcc, s59, v23
	v_cmp_ne_u32_e64 s[2:3], 0, v28
	v_cndmask_b32_e32 v22, v29, v22, vcc
	v_cndmask_b32_e64 v28, v35, v31, s[2:3]
	v_cmp_ne_u32_e32 vcc, 0, v22
	v_cndmask_b32_e64 v23, v34, v30, s[2:3]
	v_cndmask_b32_e32 v22, v27, v28, vcc
	v_cndmask_b32_e32 v23, v26, v23, vcc
	v_xor_b32_e32 v26, v22, v3
	v_xor_b32_e32 v22, v23, v3
	v_sub_co_u32_e32 v22, vcc, v22, v3
	v_subb_co_u32_e32 v23, vcc, v26, v3, vcc
.LBB3_43:                               ;   in Loop: Header=BB3_40 Depth=2
	s_andn2_saveexec_b64 s[2:3], s[4:5]
	s_cbranch_execz .LBB3_45
; %bb.44:                               ;   in Loop: Header=BB3_40 Depth=2
	v_cvt_f32_u32_e32 v3, s28
	s_sub_i32 s4, 0, s28
	v_rcp_iflag_f32_e32 v3, v3
	v_mul_f32_e32 v3, 0x4f7ffffe, v3
	v_cvt_u32_f32_e32 v3, v3
	v_mul_lo_u32 v22, s4, v3
	v_mul_hi_u32 v22, v3, v22
	v_add_u32_e32 v3, v3, v22
	v_mul_hi_u32 v3, v24, v3
	v_mul_lo_u32 v22, v3, s28
	v_add_u32_e32 v23, 1, v3
	v_sub_u32_e32 v22, v24, v22
	v_subrev_u32_e32 v26, s28, v22
	v_cmp_le_u32_e32 vcc, s28, v22
	v_cndmask_b32_e32 v22, v22, v26, vcc
	v_cndmask_b32_e32 v3, v3, v23, vcc
	v_add_u32_e32 v23, 1, v3
	v_cmp_le_u32_e32 vcc, s28, v22
	v_cndmask_b32_e32 v22, v3, v23, vcc
	v_mov_b32_e32 v23, v2
.LBB3_45:                               ;   in Loop: Header=BB3_40 Depth=2
	s_or_b64 exec, exec, s[2:3]
	v_mul_lo_u32 v3, v23, s28
	v_mul_lo_u32 v28, v22, s29
	v_mad_u64_u32 v[26:27], s[2:3], v22, s28, 0
	v_add_co_u32_e32 v22, vcc, v22, v10
	v_addc_co_u32_e32 v23, vcc, v23, v11, vcc
	v_add3_u32 v3, v27, v28, v3
	v_mul_lo_u32 v27, v23, s18
	v_mul_lo_u32 v28, v22, s19
	v_mad_u64_u32 v[22:23], s[2:3], v22, s18, 0
	v_sub_co_u32_e32 v24, vcc, v24, v26
	v_subb_co_u32_e32 v25, vcc, v25, v3, vcc
	v_cmp_eq_u64_e64 s[2:3], 0, v[24:25]
	v_add3_u32 v23, v23, v28, v27
	v_mov_b32_e32 v25, v13
	v_mov_b32_e32 v27, v21
	;; [unrolled: 1-line block ×3, first 2 shown]
	s_mov_b64 s[56:57], 0
	v_mov_b32_e32 v24, v12
	v_mov_b32_e32 v26, v20
	;; [unrolled: 1-line block ×3, first 2 shown]
	s_branch .LBB3_48
.LBB3_46:                               ;   in Loop: Header=BB3_48 Depth=3
	s_or_b64 exec, exec, s[4:5]
.LBB3_47:                               ;   in Loop: Header=BB3_48 Depth=3
	s_or_b64 exec, exec, s[58:59]
	v_add_co_u32_e32 v28, vcc, 1, v28
	v_addc_co_u32_e32 v29, vcc, 0, v29, vcc
	v_add_co_u32_e32 v26, vcc, 2, v26
	v_addc_co_u32_e32 v27, vcc, 0, v27, vcc
	v_cmp_ge_i64_e32 vcc, v[28:29], v[18:19]
	v_mov_b32_e32 v3, s27
	s_or_b64 s[56:57], vcc, s[56:57]
	v_subrev_co_u32_e32 v24, vcc, s26, v24
	v_subb_co_u32_e32 v25, vcc, v25, v3, vcc
	s_andn2_b64 exec, exec, s[56:57]
	s_cbranch_execz .LBB3_38
.LBB3_48:                               ;   Parent Loop BB3_4 Depth=1
                                        ;     Parent Loop BB3_40 Depth=2
                                        ; =>    This Inner Loop Header: Depth=3
	s_and_saveexec_b64 s[58:59], s[2:3]
	s_cbranch_execz .LBB3_47
; %bb.49:                               ;   in Loop: Header=BB3_48 Depth=3
	v_or_b32_e32 v3, s31, v25
	v_cmp_ne_u64_e32 vcc, 0, v[2:3]
                                        ; implicit-def: $vgpr30_vgpr31
	s_and_saveexec_b64 s[4:5], vcc
	s_xor_b64 s[60:61], exec, s[4:5]
	s_cbranch_execz .LBB3_51
; %bb.50:                               ;   in Loop: Header=BB3_48 Depth=3
	s_ashr_i32 s62, s31, 31
	s_add_u32 s4, s30, s62
	s_mov_b32 s63, s62
	s_addc_u32 s5, s31, s62
	s_xor_b64 s[64:65], s[4:5], s[62:63]
	v_cvt_f32_u32_e32 v3, s64
	v_cvt_f32_u32_e32 v30, s65
	s_sub_u32 s63, 0, s64
	s_subb_u32 s69, 0, s65
	v_mac_f32_e32 v3, 0x4f800000, v30
	v_rcp_f32_e32 v3, v3
	v_mul_f32_e32 v3, 0x5f7ffffc, v3
	v_mul_f32_e32 v30, 0x2f800000, v3
	v_trunc_f32_e32 v30, v30
	v_mac_f32_e32 v3, 0xcf800000, v30
	v_cvt_u32_f32_e32 v30, v30
	v_cvt_u32_f32_e32 v3, v3
	v_readfirstlane_b32 s70, v30
	v_readfirstlane_b32 s4, v3
	s_mul_i32 s5, s63, s70
	s_mul_hi_u32 s72, s63, s4
	s_mul_i32 s71, s69, s4
	s_add_i32 s5, s72, s5
	s_add_i32 s5, s5, s71
	s_mul_i32 s73, s63, s4
	s_mul_i32 s72, s4, s5
	s_mul_hi_u32 s74, s4, s73
	s_mul_hi_u32 s71, s4, s5
	s_add_u32 s72, s74, s72
	s_addc_u32 s71, 0, s71
	s_mul_hi_u32 s75, s70, s73
	s_mul_i32 s73, s70, s73
	s_add_u32 s72, s72, s73
	s_mul_hi_u32 s74, s70, s5
	s_addc_u32 s71, s71, s75
	s_addc_u32 s72, s74, 0
	s_mul_i32 s5, s70, s5
	s_add_u32 s5, s71, s5
	s_addc_u32 s71, 0, s72
	s_add_u32 s72, s4, s5
	s_cselect_b64 s[4:5], -1, 0
	s_cmp_lg_u64 s[4:5], 0
	s_addc_u32 s70, s70, s71
	s_mul_i32 s4, s63, s70
	s_mul_hi_u32 s5, s63, s72
	s_add_i32 s4, s5, s4
	s_mul_i32 s69, s69, s72
	s_add_i32 s4, s4, s69
	s_mul_i32 s63, s63, s72
	s_mul_hi_u32 s69, s70, s63
	s_mul_i32 s71, s70, s63
	s_mul_i32 s74, s72, s4
	s_mul_hi_u32 s63, s72, s63
	s_mul_hi_u32 s73, s72, s4
	s_add_u32 s63, s63, s74
	s_addc_u32 s73, 0, s73
	s_add_u32 s63, s63, s71
	s_mul_hi_u32 s5, s70, s4
	s_addc_u32 s63, s73, s69
	s_addc_u32 s5, s5, 0
	s_mul_i32 s4, s70, s4
	s_add_u32 s4, s63, s4
	s_addc_u32 s63, 0, s5
	s_add_u32 s69, s72, s4
	s_cselect_b64 s[4:5], -1, 0
	v_ashrrev_i32_e32 v3, 31, v25
	s_cmp_lg_u64 s[4:5], 0
	v_add_co_u32_e32 v30, vcc, v24, v3
	s_addc_u32 s63, s70, s63
	v_xor_b32_e32 v36, v30, v3
	v_mad_u64_u32 v[30:31], s[4:5], v36, s63, 0
	v_mul_hi_u32 v35, v36, s69
	v_addc_co_u32_e32 v34, vcc, v25, v3, vcc
	v_xor_b32_e32 v37, v34, v3
	v_add_co_u32_e32 v38, vcc, v35, v30
	v_addc_co_u32_e32 v39, vcc, 0, v31, vcc
	v_mad_u64_u32 v[30:31], s[4:5], v37, s69, 0
	v_mad_u64_u32 v[34:35], s[4:5], v37, s63, 0
	v_add_co_u32_e32 v30, vcc, v38, v30
	v_addc_co_u32_e32 v30, vcc, v39, v31, vcc
	v_addc_co_u32_e32 v31, vcc, 0, v35, vcc
	v_add_co_u32_e32 v34, vcc, v30, v34
	v_addc_co_u32_e32 v35, vcc, 0, v31, vcc
	v_mul_lo_u32 v38, s65, v34
	v_mul_lo_u32 v39, s64, v35
	v_mad_u64_u32 v[30:31], s[4:5], s64, v34, 0
	v_xor_b32_e32 v3, s62, v3
	v_add3_u32 v31, v31, v39, v38
	v_sub_u32_e32 v38, v37, v31
	v_mov_b32_e32 v39, s65
	v_sub_co_u32_e32 v30, vcc, v36, v30
	v_subb_co_u32_e64 v36, s[4:5], v38, v39, vcc
	v_subrev_co_u32_e64 v38, s[4:5], s64, v30
	v_subbrev_co_u32_e64 v36, s[4:5], 0, v36, s[4:5]
	v_cmp_le_u32_e64 s[4:5], s65, v36
	v_cndmask_b32_e64 v39, 0, -1, s[4:5]
	v_cmp_le_u32_e64 s[4:5], s64, v38
	v_cndmask_b32_e64 v38, 0, -1, s[4:5]
	v_cmp_eq_u32_e64 s[4:5], s65, v36
	v_cndmask_b32_e64 v36, v39, v38, s[4:5]
	v_add_co_u32_e64 v38, s[4:5], 2, v34
	v_subb_co_u32_e32 v31, vcc, v37, v31, vcc
	v_addc_co_u32_e64 v39, s[4:5], 0, v35, s[4:5]
	v_cmp_le_u32_e32 vcc, s65, v31
	v_add_co_u32_e64 v40, s[4:5], 1, v34
	v_cndmask_b32_e64 v37, 0, -1, vcc
	v_cmp_le_u32_e32 vcc, s64, v30
	v_addc_co_u32_e64 v41, s[4:5], 0, v35, s[4:5]
	v_cndmask_b32_e64 v30, 0, -1, vcc
	v_cmp_eq_u32_e32 vcc, s65, v31
	v_cmp_ne_u32_e64 s[4:5], 0, v36
	v_cndmask_b32_e32 v30, v37, v30, vcc
	v_cndmask_b32_e64 v36, v41, v39, s[4:5]
	v_cmp_ne_u32_e32 vcc, 0, v30
	v_cndmask_b32_e64 v31, v40, v38, s[4:5]
	v_cndmask_b32_e32 v30, v35, v36, vcc
	v_cndmask_b32_e32 v31, v34, v31, vcc
	v_xor_b32_e32 v34, v30, v3
	v_xor_b32_e32 v30, v31, v3
	v_sub_co_u32_e32 v30, vcc, v30, v3
	v_subb_co_u32_e32 v31, vcc, v34, v3, vcc
.LBB3_51:                               ;   in Loop: Header=BB3_48 Depth=3
	s_andn2_saveexec_b64 s[4:5], s[60:61]
	s_cbranch_execz .LBB3_53
; %bb.52:                               ;   in Loop: Header=BB3_48 Depth=3
	v_cvt_f32_u32_e32 v3, s30
	s_sub_i32 s60, 0, s30
	v_rcp_iflag_f32_e32 v3, v3
	v_mul_f32_e32 v3, 0x4f7ffffe, v3
	v_cvt_u32_f32_e32 v3, v3
	v_mul_lo_u32 v30, s60, v3
	v_mul_hi_u32 v30, v3, v30
	v_add_u32_e32 v3, v3, v30
	v_mul_hi_u32 v3, v24, v3
	v_mul_lo_u32 v30, v3, s30
	v_add_u32_e32 v31, 1, v3
	v_sub_u32_e32 v30, v24, v30
	v_subrev_u32_e32 v34, s30, v30
	v_cmp_le_u32_e32 vcc, s30, v30
	v_cndmask_b32_e32 v30, v30, v34, vcc
	v_cndmask_b32_e32 v3, v3, v31, vcc
	v_add_u32_e32 v31, 1, v3
	v_cmp_le_u32_e32 vcc, s30, v30
	v_cndmask_b32_e32 v30, v3, v31, vcc
	v_mov_b32_e32 v31, v2
.LBB3_53:                               ;   in Loop: Header=BB3_48 Depth=3
	s_or_b64 exec, exec, s[4:5]
	v_mul_lo_u32 v3, v31, s30
	v_mul_lo_u32 v36, v30, s31
	v_mad_u64_u32 v[34:35], s[4:5], v30, s30, 0
	v_add3_u32 v3, v35, v36, v3
	v_sub_co_u32_e32 v34, vcc, v24, v34
	v_subb_co_u32_e32 v35, vcc, v25, v3, vcc
	v_cmp_eq_u64_e32 vcc, 0, v[34:35]
	s_and_saveexec_b64 s[4:5], vcc
	s_cbranch_execz .LBB3_46
; %bb.54:                               ;   in Loop: Header=BB3_48 Depth=3
	v_add_co_u32_e32 v3, vcc, v22, v30
	v_addc_co_u32_e32 v30, vcc, v23, v31, vcc
	v_mul_lo_u32 v34, v3, s37
	v_mul_lo_u32 v35, v30, s36
	v_mad_u64_u32 v[30:31], s[60:61], v3, s36, v[14:15]
	v_add3_u32 v3, v35, v31, v34
	v_mul_lo_u32 v3, s46, v3
	v_mul_lo_u32 v34, s47, v30
	v_mad_u64_u32 v[30:31], s[60:61], s46, v30, v[26:27]
	v_add3_u32 v31, v34, v31, v3
	global_load_ushort v3, v[30:31], off
	s_waitcnt vmcnt(0)
	v_lshlrev_b32_e32 v3, 16, v3
	v_add_f32_e32 v33, v33, v3
	s_branch .LBB3_46
.LBB3_55:
	s_endpgm
	.section	.rodata,"a",@progbits
	.p2align	6, 0x0
	.amdhsa_kernel _ZN2at6native13col2im_kernelIN3c108BFloat16EfEEvlPKT_llllllllllllPS4_
		.amdhsa_group_segment_fixed_size 0
		.amdhsa_private_segment_fixed_size 0
		.amdhsa_kernarg_size 376
		.amdhsa_user_sgpr_count 6
		.amdhsa_user_sgpr_private_segment_buffer 1
		.amdhsa_user_sgpr_dispatch_ptr 0
		.amdhsa_user_sgpr_queue_ptr 0
		.amdhsa_user_sgpr_kernarg_segment_ptr 1
		.amdhsa_user_sgpr_dispatch_id 0
		.amdhsa_user_sgpr_flat_scratch_init 0
		.amdhsa_user_sgpr_private_segment_size 0
		.amdhsa_uses_dynamic_stack 0
		.amdhsa_system_sgpr_private_segment_wavefront_offset 0
		.amdhsa_system_sgpr_workgroup_id_x 1
		.amdhsa_system_sgpr_workgroup_id_y 0
		.amdhsa_system_sgpr_workgroup_id_z 0
		.amdhsa_system_sgpr_workgroup_info 0
		.amdhsa_system_vgpr_workitem_id 0
		.amdhsa_next_free_vgpr 42
		.amdhsa_next_free_sgpr 76
		.amdhsa_reserve_vcc 1
		.amdhsa_reserve_flat_scratch 0
		.amdhsa_float_round_mode_32 0
		.amdhsa_float_round_mode_16_64 0
		.amdhsa_float_denorm_mode_32 3
		.amdhsa_float_denorm_mode_16_64 3
		.amdhsa_dx10_clamp 1
		.amdhsa_ieee_mode 1
		.amdhsa_fp16_overflow 0
		.amdhsa_exception_fp_ieee_invalid_op 0
		.amdhsa_exception_fp_denorm_src 0
		.amdhsa_exception_fp_ieee_div_zero 0
		.amdhsa_exception_fp_ieee_overflow 0
		.amdhsa_exception_fp_ieee_underflow 0
		.amdhsa_exception_fp_ieee_inexact 0
		.amdhsa_exception_int_div_zero 0
	.end_amdhsa_kernel
	.section	.text._ZN2at6native13col2im_kernelIN3c108BFloat16EfEEvlPKT_llllllllllllPS4_,"axG",@progbits,_ZN2at6native13col2im_kernelIN3c108BFloat16EfEEvlPKT_llllllllllllPS4_,comdat
.Lfunc_end3:
	.size	_ZN2at6native13col2im_kernelIN3c108BFloat16EfEEvlPKT_llllllllllllPS4_, .Lfunc_end3-_ZN2at6native13col2im_kernelIN3c108BFloat16EfEEvlPKT_llllllllllllPS4_
                                        ; -- End function
	.set _ZN2at6native13col2im_kernelIN3c108BFloat16EfEEvlPKT_llllllllllllPS4_.num_vgpr, 42
	.set _ZN2at6native13col2im_kernelIN3c108BFloat16EfEEvlPKT_llllllllllllPS4_.num_agpr, 0
	.set _ZN2at6native13col2im_kernelIN3c108BFloat16EfEEvlPKT_llllllllllllPS4_.numbered_sgpr, 76
	.set _ZN2at6native13col2im_kernelIN3c108BFloat16EfEEvlPKT_llllllllllllPS4_.num_named_barrier, 0
	.set _ZN2at6native13col2im_kernelIN3c108BFloat16EfEEvlPKT_llllllllllllPS4_.private_seg_size, 0
	.set _ZN2at6native13col2im_kernelIN3c108BFloat16EfEEvlPKT_llllllllllllPS4_.uses_vcc, 1
	.set _ZN2at6native13col2im_kernelIN3c108BFloat16EfEEvlPKT_llllllllllllPS4_.uses_flat_scratch, 0
	.set _ZN2at6native13col2im_kernelIN3c108BFloat16EfEEvlPKT_llllllllllllPS4_.has_dyn_sized_stack, 0
	.set _ZN2at6native13col2im_kernelIN3c108BFloat16EfEEvlPKT_llllllllllllPS4_.has_recursion, 0
	.set _ZN2at6native13col2im_kernelIN3c108BFloat16EfEEvlPKT_llllllllllllPS4_.has_indirect_call, 0
	.section	.AMDGPU.csdata,"",@progbits
; Kernel info:
; codeLenInByte = 7696
; TotalNumSgprs: 80
; NumVgprs: 42
; ScratchSize: 0
; MemoryBound: 0
; FloatMode: 240
; IeeeMode: 1
; LDSByteSize: 0 bytes/workgroup (compile time only)
; SGPRBlocks: 9
; VGPRBlocks: 10
; NumSGPRsForWavesPerEU: 80
; NumVGPRsForWavesPerEU: 42
; Occupancy: 5
; WaveLimiterHint : 0
; COMPUTE_PGM_RSRC2:SCRATCH_EN: 0
; COMPUTE_PGM_RSRC2:USER_SGPR: 6
; COMPUTE_PGM_RSRC2:TRAP_HANDLER: 0
; COMPUTE_PGM_RSRC2:TGID_X_EN: 1
; COMPUTE_PGM_RSRC2:TGID_Y_EN: 0
; COMPUTE_PGM_RSRC2:TGID_Z_EN: 0
; COMPUTE_PGM_RSRC2:TIDIG_COMP_CNT: 0
	.section	.text._ZN2at6native13im2col_kernelIdEEvlPKT_llllllllllllPS2_,"axG",@progbits,_ZN2at6native13im2col_kernelIdEEvlPKT_llllllllllllPS2_,comdat
	.protected	_ZN2at6native13im2col_kernelIdEEvlPKT_llllllllllllPS2_ ; -- Begin function _ZN2at6native13im2col_kernelIdEEvlPKT_llllllllllllPS2_
	.globl	_ZN2at6native13im2col_kernelIdEEvlPKT_llllllllllllPS2_
	.p2align	8
	.type	_ZN2at6native13im2col_kernelIdEEvlPKT_llllllllllllPS2_,@function
_ZN2at6native13im2col_kernelIdEEvlPKT_llllllllllllPS2_: ; @_ZN2at6native13im2col_kernelIdEEvlPKT_llllllllllllPS2_
; %bb.0:
	s_load_dword s2, s[4:5], 0x84
	s_load_dwordx16 s[8:23], s[4:5], 0x0
	s_add_u32 s0, s4, 0x78
	v_mov_b32_e32 v2, 0
	s_addc_u32 s1, s5, 0
	s_waitcnt lgkmcnt(0)
	s_and_b32 s2, s2, 0xffff
	v_mov_b32_e32 v1, v2
	v_mov_b32_e32 v3, s6
	v_mad_u64_u32 v[0:1], s[6:7], s2, v3, v[0:1]
	v_cmp_gt_i64_e32 vcc, s[8:9], v[0:1]
	s_and_saveexec_b64 s[6:7], vcc
	s_cbranch_execz .LBB4_19
; %bb.1:
	s_load_dwordx8 s[24:31], s[4:5], 0x60
	s_load_dwordx8 s[36:43], s[4:5], 0x40
	s_waitcnt lgkmcnt(0)
	v_cmp_gt_i64_e64 s[30:31], s[16:17], 0
	s_load_dword s0, s[0:1], 0x0
	v_cmp_gt_i64_e64 s[34:35], s[18:19], 0
	s_mul_i32 s3, s18, s25
	s_mul_hi_u32 s4, s18, s24
	s_mul_i32 s5, s19, s24
	s_mul_i32 s6, s18, s24
	s_add_i32 s3, s4, s3
	s_add_i32 s3, s3, s5
	s_mul_i32 s1, s6, s17
	s_mul_hi_u32 s4, s6, s16
	s_add_i32 s1, s4, s1
	s_mul_i32 s3, s3, s16
	s_add_i32 s33, s1, s3
	s_waitcnt lgkmcnt(0)
	s_mul_i32 s57, s0, s2
	s_lshl_b64 s[0:1], s[22:23], 3
	s_sub_u32 s0, 0, s0
	s_subb_u32 s1, 0, s1
	s_add_u32 s58, s10, s0
	s_addc_u32 s59, s11, s1
	s_mul_i32 s0, s40, s15
	s_mul_hi_u32 s1, s40, s14
	s_add_i32 s0, s1, s0
	s_mul_i32 s1, s41, s14
	s_add_i32 s1, s0, s1
	s_mul_i32 s0, s40, s14
	s_lshl_b64 s[46:47], s[0:1], 3
	s_mul_i32 s0, s26, s25
	s_mul_hi_u32 s1, s26, s24
	s_add_i32 s0, s1, s0
	s_mul_i32 s1, s27, s24
	s_add_i32 s1, s0, s1
	s_mul_i32 s0, s26, s24
	s_mul_i32 s56, s6, s16
	s_mov_b64 s[6:7], 0
	s_lshl_b64 s[10:11], s[14:15], 3
	s_lshl_b64 s[44:45], s[38:39], 3
	;; [unrolled: 1-line block ×4, first 2 shown]
	s_branch .LBB4_3
.LBB4_2:                                ;   in Loop: Header=BB4_3 Depth=1
	v_add_co_u32_e32 v0, vcc, s57, v0
	v_addc_co_u32_e32 v1, vcc, 0, v1, vcc
	v_cmp_le_i64_e32 vcc, s[8:9], v[0:1]
	s_or_b64 s[6:7], vcc, s[6:7]
	s_andn2_b64 exec, exec, s[6:7]
	s_cbranch_execz .LBB4_19
.LBB4_3:                                ; =>This Loop Header: Depth=1
                                        ;     Child Loop BB4_14 Depth 2
                                        ;       Child Loop BB4_17 Depth 3
	v_or_b32_e32 v3, s27, v1
	v_cmp_ne_u64_e32 vcc, 0, v[2:3]
                                        ; implicit-def: $vgpr4_vgpr5
	s_and_saveexec_b64 s[0:1], vcc
	s_xor_b64 s[2:3], exec, s[0:1]
	s_cbranch_execz .LBB4_5
; %bb.4:                                ;   in Loop: Header=BB4_3 Depth=1
	s_ashr_i32 s4, s27, 31
	s_add_u32 s0, s26, s4
	s_mov_b32 s5, s4
	s_addc_u32 s1, s27, s4
	s_xor_b64 s[52:53], s[0:1], s[4:5]
	v_cvt_f32_u32_e32 v3, s52
	v_cvt_f32_u32_e32 v4, s53
	s_sub_u32 s5, 0, s52
	s_subb_u32 s54, 0, s53
	v_ashrrev_i32_e32 v7, 31, v1
	v_mac_f32_e32 v3, 0x4f800000, v4
	v_rcp_f32_e32 v3, v3
	v_mul_f32_e32 v3, 0x5f7ffffc, v3
	v_mul_f32_e32 v4, 0x2f800000, v3
	v_trunc_f32_e32 v4, v4
	v_mac_f32_e32 v3, 0xcf800000, v4
	v_cvt_u32_f32_e32 v4, v4
	v_cvt_u32_f32_e32 v3, v3
	v_readfirstlane_b32 s55, v4
	v_readfirstlane_b32 s0, v3
	s_mul_i32 s1, s5, s55
	s_mul_hi_u32 s61, s5, s0
	s_mul_i32 s60, s54, s0
	s_add_i32 s1, s61, s1
	s_add_i32 s1, s1, s60
	s_mul_i32 s62, s5, s0
	s_mul_i32 s61, s0, s1
	s_mul_hi_u32 s63, s0, s62
	s_mul_hi_u32 s60, s0, s1
	s_add_u32 s61, s63, s61
	s_addc_u32 s60, 0, s60
	s_mul_hi_u32 s64, s55, s62
	s_mul_i32 s62, s55, s62
	s_add_u32 s61, s61, s62
	s_mul_hi_u32 s63, s55, s1
	s_addc_u32 s60, s60, s64
	s_addc_u32 s61, s63, 0
	s_mul_i32 s1, s55, s1
	s_add_u32 s1, s60, s1
	s_addc_u32 s60, 0, s61
	s_add_u32 s61, s0, s1
	s_cselect_b64 s[0:1], -1, 0
	s_cmp_lg_u64 s[0:1], 0
	s_addc_u32 s55, s55, s60
	s_mul_i32 s0, s5, s55
	s_mul_hi_u32 s1, s5, s61
	s_add_i32 s0, s1, s0
	s_mul_i32 s54, s54, s61
	s_add_i32 s0, s0, s54
	s_mul_i32 s5, s5, s61
	s_mul_hi_u32 s54, s55, s5
	s_mul_i32 s60, s55, s5
	s_mul_i32 s63, s61, s0
	s_mul_hi_u32 s5, s61, s5
	s_mul_hi_u32 s62, s61, s0
	s_add_u32 s5, s5, s63
	s_addc_u32 s62, 0, s62
	s_add_u32 s5, s5, s60
	s_mul_hi_u32 s1, s55, s0
	s_addc_u32 s5, s62, s54
	s_addc_u32 s1, s1, 0
	s_mul_i32 s0, s55, s0
	s_add_u32 s0, s5, s0
	s_addc_u32 s5, 0, s1
	s_add_u32 s54, s61, s0
	s_cselect_b64 s[0:1], -1, 0
	s_cmp_lg_u64 s[0:1], 0
	v_add_co_u32_e32 v3, vcc, v0, v7
	s_addc_u32 s5, s55, s5
	v_xor_b32_e32 v8, v3, v7
	v_mad_u64_u32 v[3:4], s[0:1], v8, s5, 0
	v_mul_hi_u32 v6, v8, s54
	v_addc_co_u32_e32 v5, vcc, v1, v7, vcc
	v_xor_b32_e32 v9, v5, v7
	v_add_co_u32_e32 v10, vcc, v6, v3
	v_addc_co_u32_e32 v11, vcc, 0, v4, vcc
	v_mad_u64_u32 v[3:4], s[0:1], v9, s54, 0
	v_mad_u64_u32 v[5:6], s[0:1], v9, s5, 0
	v_add_co_u32_e32 v3, vcc, v10, v3
	v_addc_co_u32_e32 v3, vcc, v11, v4, vcc
	v_addc_co_u32_e32 v4, vcc, 0, v6, vcc
	v_add_co_u32_e32 v5, vcc, v3, v5
	v_addc_co_u32_e32 v6, vcc, 0, v4, vcc
	v_mul_lo_u32 v10, s53, v5
	v_mul_lo_u32 v11, s52, v6
	v_mad_u64_u32 v[3:4], s[0:1], s52, v5, 0
	v_add3_u32 v4, v4, v11, v10
	v_sub_u32_e32 v10, v9, v4
	v_mov_b32_e32 v11, s53
	v_sub_co_u32_e32 v3, vcc, v8, v3
	v_subb_co_u32_e64 v8, s[0:1], v10, v11, vcc
	v_subrev_co_u32_e64 v10, s[0:1], s52, v3
	v_subbrev_co_u32_e64 v8, s[0:1], 0, v8, s[0:1]
	v_cmp_le_u32_e64 s[0:1], s53, v8
	v_cndmask_b32_e64 v11, 0, -1, s[0:1]
	v_cmp_le_u32_e64 s[0:1], s52, v10
	v_cndmask_b32_e64 v10, 0, -1, s[0:1]
	v_cmp_eq_u32_e64 s[0:1], s53, v8
	v_cndmask_b32_e64 v8, v11, v10, s[0:1]
	v_add_co_u32_e64 v10, s[0:1], 2, v5
	v_subb_co_u32_e32 v4, vcc, v9, v4, vcc
	v_addc_co_u32_e64 v11, s[0:1], 0, v6, s[0:1]
	v_cmp_le_u32_e32 vcc, s53, v4
	v_add_co_u32_e64 v12, s[0:1], 1, v5
	v_cndmask_b32_e64 v9, 0, -1, vcc
	v_cmp_le_u32_e32 vcc, s52, v3
	v_addc_co_u32_e64 v13, s[0:1], 0, v6, s[0:1]
	v_cndmask_b32_e64 v3, 0, -1, vcc
	v_cmp_eq_u32_e32 vcc, s53, v4
	v_cmp_ne_u32_e64 s[0:1], 0, v8
	v_cndmask_b32_e32 v3, v9, v3, vcc
	v_cmp_ne_u32_e32 vcc, 0, v3
	v_cndmask_b32_e64 v4, v12, v10, s[0:1]
	v_cndmask_b32_e64 v8, v13, v11, s[0:1]
	v_cndmask_b32_e32 v4, v5, v4, vcc
	v_xor_b32_e32 v5, s4, v7
	v_cndmask_b32_e32 v3, v6, v8, vcc
	v_xor_b32_e32 v4, v4, v5
	v_xor_b32_e32 v3, v3, v5
	v_sub_co_u32_e32 v4, vcc, v4, v5
	v_subb_co_u32_e32 v5, vcc, v3, v5, vcc
.LBB4_5:                                ;   in Loop: Header=BB4_3 Depth=1
	s_andn2_saveexec_b64 s[0:1], s[2:3]
	s_cbranch_execz .LBB4_7
; %bb.6:                                ;   in Loop: Header=BB4_3 Depth=1
	v_cvt_f32_u32_e32 v3, s26
	s_sub_i32 s2, 0, s26
	v_rcp_iflag_f32_e32 v3, v3
	v_mul_f32_e32 v3, 0x4f7ffffe, v3
	v_cvt_u32_f32_e32 v3, v3
	v_mul_lo_u32 v4, s2, v3
	v_mul_hi_u32 v4, v3, v4
	v_add_u32_e32 v3, v3, v4
	v_mul_hi_u32 v3, v0, v3
	v_mul_lo_u32 v4, v3, s26
	v_add_u32_e32 v5, 1, v3
	v_sub_u32_e32 v4, v0, v4
	v_subrev_u32_e32 v6, s26, v4
	v_cmp_le_u32_e32 vcc, s26, v4
	v_cndmask_b32_e32 v4, v4, v6, vcc
	v_cndmask_b32_e32 v3, v3, v5, vcc
	v_add_u32_e32 v5, 1, v3
	v_cmp_le_u32_e32 vcc, s26, v4
	v_cndmask_b32_e32 v4, v3, v5, vcc
	v_mov_b32_e32 v5, v2
.LBB4_7:                                ;   in Loop: Header=BB4_3 Depth=1
	s_or_b64 exec, exec, s[0:1]
	v_or_b32_e32 v3, s25, v5
	v_cmp_ne_u64_e32 vcc, 0, v[2:3]
                                        ; implicit-def: $vgpr6_vgpr7
	s_and_saveexec_b64 s[0:1], vcc
	s_xor_b64 s[2:3], exec, s[0:1]
	s_cbranch_execnz .LBB4_10
; %bb.8:                                ;   in Loop: Header=BB4_3 Depth=1
	s_andn2_saveexec_b64 s[0:1], s[2:3]
	s_cbranch_execnz .LBB4_11
.LBB4_9:                                ;   in Loop: Header=BB4_3 Depth=1
	s_or_b64 exec, exec, s[0:1]
	s_andn2_b64 vcc, exec, s[30:31]
	s_cbranch_vccz .LBB4_12
	s_branch .LBB4_2
.LBB4_10:                               ;   in Loop: Header=BB4_3 Depth=1
	s_ashr_i32 s4, s25, 31
	s_add_u32 s0, s24, s4
	s_mov_b32 s5, s4
	s_addc_u32 s1, s25, s4
	s_xor_b64 s[52:53], s[0:1], s[4:5]
	v_cvt_f32_u32_e32 v3, s52
	v_cvt_f32_u32_e32 v6, s53
	s_sub_u32 s5, 0, s52
	s_subb_u32 s54, 0, s53
	v_mac_f32_e32 v3, 0x4f800000, v6
	v_rcp_f32_e32 v3, v3
	v_mul_f32_e32 v3, 0x5f7ffffc, v3
	v_mul_f32_e32 v6, 0x2f800000, v3
	v_trunc_f32_e32 v6, v6
	v_mac_f32_e32 v3, 0xcf800000, v6
	v_cvt_u32_f32_e32 v6, v6
	v_cvt_u32_f32_e32 v3, v3
	v_readfirstlane_b32 s55, v6
	v_readfirstlane_b32 s0, v3
	s_mul_i32 s1, s5, s55
	s_mul_hi_u32 s61, s5, s0
	s_mul_i32 s60, s54, s0
	s_add_i32 s1, s61, s1
	s_add_i32 s1, s1, s60
	s_mul_i32 s62, s5, s0
	s_mul_i32 s61, s0, s1
	s_mul_hi_u32 s63, s0, s62
	s_mul_hi_u32 s60, s0, s1
	s_add_u32 s61, s63, s61
	s_addc_u32 s60, 0, s60
	s_mul_hi_u32 s64, s55, s62
	s_mul_i32 s62, s55, s62
	s_add_u32 s61, s61, s62
	s_mul_hi_u32 s63, s55, s1
	s_addc_u32 s60, s60, s64
	s_addc_u32 s61, s63, 0
	s_mul_i32 s1, s55, s1
	s_add_u32 s1, s60, s1
	s_addc_u32 s60, 0, s61
	s_add_u32 s61, s0, s1
	s_cselect_b64 s[0:1], -1, 0
	s_cmp_lg_u64 s[0:1], 0
	s_addc_u32 s55, s55, s60
	s_mul_i32 s0, s5, s55
	s_mul_hi_u32 s1, s5, s61
	s_add_i32 s0, s1, s0
	s_mul_i32 s54, s54, s61
	s_add_i32 s0, s0, s54
	s_mul_i32 s5, s5, s61
	s_mul_hi_u32 s54, s55, s5
	s_mul_i32 s60, s55, s5
	s_mul_i32 s63, s61, s0
	s_mul_hi_u32 s5, s61, s5
	s_mul_hi_u32 s62, s61, s0
	s_add_u32 s5, s5, s63
	s_addc_u32 s62, 0, s62
	s_add_u32 s5, s5, s60
	s_mul_hi_u32 s1, s55, s0
	s_addc_u32 s5, s62, s54
	s_addc_u32 s1, s1, 0
	s_mul_i32 s0, s55, s0
	s_add_u32 s0, s5, s0
	s_addc_u32 s5, 0, s1
	s_add_u32 s54, s61, s0
	s_cselect_b64 s[0:1], -1, 0
	v_ashrrev_i32_e32 v3, 31, v5
	s_cmp_lg_u64 s[0:1], 0
	v_add_co_u32_e32 v6, vcc, v4, v3
	s_addc_u32 s5, s55, s5
	v_xor_b32_e32 v10, v6, v3
	v_mad_u64_u32 v[6:7], s[0:1], v10, s5, 0
	v_mul_hi_u32 v9, v10, s54
	v_addc_co_u32_e32 v8, vcc, v5, v3, vcc
	v_xor_b32_e32 v11, v8, v3
	v_add_co_u32_e32 v12, vcc, v9, v6
	v_addc_co_u32_e32 v13, vcc, 0, v7, vcc
	v_mad_u64_u32 v[6:7], s[0:1], v11, s54, 0
	v_mad_u64_u32 v[8:9], s[0:1], v11, s5, 0
	v_add_co_u32_e32 v6, vcc, v12, v6
	v_addc_co_u32_e32 v6, vcc, v13, v7, vcc
	v_addc_co_u32_e32 v7, vcc, 0, v9, vcc
	v_add_co_u32_e32 v8, vcc, v6, v8
	v_addc_co_u32_e32 v9, vcc, 0, v7, vcc
	v_mul_lo_u32 v12, s53, v8
	v_mul_lo_u32 v13, s52, v9
	v_mad_u64_u32 v[6:7], s[0:1], s52, v8, 0
	v_xor_b32_e32 v3, s4, v3
	v_add3_u32 v7, v7, v13, v12
	v_sub_u32_e32 v12, v11, v7
	v_mov_b32_e32 v13, s53
	v_sub_co_u32_e32 v6, vcc, v10, v6
	v_subb_co_u32_e64 v10, s[0:1], v12, v13, vcc
	v_subrev_co_u32_e64 v12, s[0:1], s52, v6
	v_subbrev_co_u32_e64 v10, s[0:1], 0, v10, s[0:1]
	v_cmp_le_u32_e64 s[0:1], s53, v10
	v_cndmask_b32_e64 v13, 0, -1, s[0:1]
	v_cmp_le_u32_e64 s[0:1], s52, v12
	v_cndmask_b32_e64 v12, 0, -1, s[0:1]
	v_cmp_eq_u32_e64 s[0:1], s53, v10
	v_cndmask_b32_e64 v10, v13, v12, s[0:1]
	v_add_co_u32_e64 v12, s[0:1], 2, v8
	v_subb_co_u32_e32 v7, vcc, v11, v7, vcc
	v_addc_co_u32_e64 v13, s[0:1], 0, v9, s[0:1]
	v_cmp_le_u32_e32 vcc, s53, v7
	v_add_co_u32_e64 v14, s[0:1], 1, v8
	v_cndmask_b32_e64 v11, 0, -1, vcc
	v_cmp_le_u32_e32 vcc, s52, v6
	v_addc_co_u32_e64 v15, s[0:1], 0, v9, s[0:1]
	v_cndmask_b32_e64 v6, 0, -1, vcc
	v_cmp_eq_u32_e32 vcc, s53, v7
	v_cmp_ne_u32_e64 s[0:1], 0, v10
	v_cndmask_b32_e32 v6, v11, v6, vcc
	v_cndmask_b32_e64 v10, v15, v13, s[0:1]
	v_cmp_ne_u32_e32 vcc, 0, v6
	v_cndmask_b32_e64 v7, v14, v12, s[0:1]
	v_cndmask_b32_e32 v6, v9, v10, vcc
	v_cndmask_b32_e32 v7, v8, v7, vcc
	v_xor_b32_e32 v8, v6, v3
	v_xor_b32_e32 v6, v7, v3
	v_sub_co_u32_e32 v6, vcc, v6, v3
	v_subb_co_u32_e32 v7, vcc, v8, v3, vcc
	s_andn2_saveexec_b64 s[0:1], s[2:3]
	s_cbranch_execz .LBB4_9
.LBB4_11:                               ;   in Loop: Header=BB4_3 Depth=1
	v_cvt_f32_u32_e32 v3, s24
	s_sub_i32 s2, 0, s24
	v_rcp_iflag_f32_e32 v3, v3
	v_mul_f32_e32 v3, 0x4f7ffffe, v3
	v_cvt_u32_f32_e32 v3, v3
	v_mul_lo_u32 v6, s2, v3
	v_mul_hi_u32 v6, v3, v6
	v_add_u32_e32 v3, v3, v6
	v_mul_hi_u32 v3, v4, v3
	v_mul_lo_u32 v6, v3, s24
	v_add_u32_e32 v7, 1, v3
	v_sub_u32_e32 v6, v4, v6
	v_subrev_u32_e32 v8, s24, v6
	v_cmp_le_u32_e32 vcc, s24, v6
	v_cndmask_b32_e32 v6, v6, v8, vcc
	v_cndmask_b32_e32 v3, v3, v7, vcc
	v_add_u32_e32 v7, 1, v3
	v_cmp_le_u32_e32 vcc, s24, v6
	v_cndmask_b32_e32 v6, v3, v7, vcc
	v_mov_b32_e32 v7, v2
	s_or_b64 exec, exec, s[0:1]
	s_andn2_b64 vcc, exec, s[30:31]
	s_cbranch_vccnz .LBB4_2
.LBB4_12:                               ;   in Loop: Header=BB4_3 Depth=1
	v_mul_lo_u32 v3, v5, s26
	v_mul_lo_u32 v12, v4, s27
	v_mad_u64_u32 v[8:9], s[0:1], v4, s26, 0
	v_mul_lo_u32 v13, v7, s24
	v_mul_lo_u32 v14, v6, s25
	v_mad_u64_u32 v[10:11], s[0:1], v6, s24, 0
	v_add3_u32 v12, v9, v12, v3
	v_mul_lo_u32 v19, v7, s12
	v_add3_u32 v3, v11, v14, v13
	v_sub_co_u32_e32 v9, vcc, v4, v10
	v_subb_co_u32_e32 v10, vcc, v5, v3, vcc
	v_mul_lo_u32 v5, v10, s36
	v_mul_lo_u32 v13, v9, s37
	v_mad_u64_u32 v[3:4], s[0:1], v9, s36, 0
	v_sub_co_u32_e32 v11, vcc, v0, v8
	v_subb_co_u32_e32 v12, vcc, v1, v12, vcc
	v_add3_u32 v4, v4, v13, v5
	v_mul_lo_u32 v8, v12, s38
	v_mul_lo_u32 v15, v11, s39
	v_mad_u64_u32 v[13:14], s[0:1], v11, s38, 0
	v_mov_b32_e32 v5, s21
	v_subrev_co_u32_e32 v3, vcc, s20, v3
	v_subb_co_u32_e32 v4, vcc, v4, v5, vcc
	v_add3_u32 v16, v14, v15, v8
	v_mad_u64_u32 v[8:9], s[0:1], s56, v6, v[9:10]
	v_mul_lo_u32 v5, s56, v7
	v_mul_lo_u32 v10, s33, v6
	v_mov_b32_e32 v17, s23
	v_mad_u64_u32 v[14:15], s[0:1], v6, s12, v[3:4]
	v_add3_u32 v5, v10, v9, v5
	v_mul_lo_u32 v9, v8, s27
	v_mul_lo_u32 v10, v5, s26
	v_mad_u64_u32 v[7:8], s[0:1], v8, s26, 0
	v_subrev_co_u32_e32 v5, vcc, s22, v13
	v_mul_lo_u32 v18, v6, s13
	v_subb_co_u32_e32 v6, vcc, v16, v17, vcc
	v_add3_u32 v8, v8, v9, v10
	v_mul_lo_u32 v16, s45, v11
	v_mul_lo_u32 v17, s44, v12
	v_mad_u64_u32 v[9:10], s[0:1], s44, v11, 0
	v_lshlrev_b64 v[7:8], 3, v[7:8]
	v_add3_u32 v13, v19, v15, v18
	v_mov_b32_e32 v15, s29
	v_add_co_u32_e32 v18, vcc, s28, v7
	v_add3_u32 v10, v10, v17, v16
	v_addc_co_u32_e32 v15, vcc, v15, v8, vcc
	v_lshlrev_b64 v[7:8], 3, v[11:12]
	v_mad_u64_u32 v[9:10], s[0:1], s10, v14, v[9:10]
	v_mul_lo_u32 v11, s11, v14
	v_mul_lo_u32 v12, s10, v13
	v_add_co_u32_e32 v7, vcc, v18, v7
	v_addc_co_u32_e32 v8, vcc, v15, v8, vcc
	v_add3_u32 v10, v11, v10, v12
	v_mov_b32_e32 v11, s59
	v_add_co_u32_e32 v9, vcc, s58, v9
	v_addc_co_u32_e32 v10, vcc, v11, v10, vcc
	s_mov_b64 s[52:53], 0
	s_branch .LBB4_14
.LBB4_13:                               ;   in Loop: Header=BB4_14 Depth=2
	s_add_u32 s52, s52, 1
	s_addc_u32 s53, s53, 0
	v_mov_b32_e32 v11, s47
	v_add_co_u32_e32 v9, vcc, s46, v9
	s_cmp_eq_u64 s[52:53], s[16:17]
	v_addc_co_u32_e32 v10, vcc, v10, v11, vcc
	s_cbranch_scc1 .LBB4_2
.LBB4_14:                               ;   Parent Loop BB4_3 Depth=1
                                        ; =>  This Loop Header: Depth=2
                                        ;       Child Loop BB4_17 Depth 3
	s_andn2_b64 vcc, exec, s[34:35]
	s_cbranch_vccnz .LBB4_13
; %bb.15:                               ;   in Loop: Header=BB4_14 Depth=2
	v_mov_b32_e32 v11, s40
	v_mad_u64_u32 v[11:12], s[0:1], s52, v11, v[3:4]
	s_mul_i32 s0, s53, s40
	s_mul_i32 s1, s52, s41
	s_add_i32 s1, s1, s0
	v_add_u32_e32 v12, s1, v12
	v_cmp_lt_i64_e32 vcc, -1, v[11:12]
	v_cmp_gt_i64_e64 s[0:1], s[12:13], v[11:12]
	v_mov_b32_e32 v12, v6
	v_mov_b32_e32 v14, v10
	;; [unrolled: 1-line block ×4, first 2 shown]
	s_mov_b64 s[54:55], s[18:19]
	s_branch .LBB4_17
.LBB4_16:                               ;   in Loop: Header=BB4_17 Depth=3
	s_or_b64 exec, exec, s[2:3]
	s_waitcnt vmcnt(0)
	global_store_dwordx2 v[7:8], v[15:16], off
	v_mov_b32_e32 v15, s49
	v_add_co_u32_e64 v13, s[2:3], s48, v13
	v_addc_co_u32_e64 v14, s[2:3], v14, v15, s[2:3]
	v_mov_b32_e32 v15, s43
	v_add_co_u32_e64 v11, s[2:3], s42, v11
	s_add_u32 s54, s54, -1
	v_addc_co_u32_e64 v12, s[2:3], v12, v15, s[2:3]
	s_addc_u32 s55, s55, -1
	v_mov_b32_e32 v15, s51
	v_add_co_u32_e64 v7, s[2:3], s50, v7
	s_cmp_eq_u64 s[54:55], 0
	v_addc_co_u32_e64 v8, s[2:3], v8, v15, s[2:3]
	s_cbranch_scc1 .LBB4_13
.LBB4_17:                               ;   Parent Loop BB4_3 Depth=1
                                        ;     Parent Loop BB4_14 Depth=2
                                        ; =>    This Inner Loop Header: Depth=3
	v_cmp_lt_i64_e64 s[2:3], -1, v[11:12]
	v_cmp_gt_i64_e64 s[4:5], s[14:15], v[11:12]
	s_and_b64 s[2:3], vcc, s[2:3]
	s_and_b64 s[2:3], s[0:1], s[2:3]
	v_mov_b32_e32 v15, 0
	v_mov_b32_e32 v16, 0
	s_and_b64 s[4:5], s[2:3], s[4:5]
	s_and_saveexec_b64 s[2:3], s[4:5]
	s_cbranch_execz .LBB4_16
; %bb.18:                               ;   in Loop: Header=BB4_17 Depth=3
	global_load_dwordx2 v[15:16], v[13:14], off
	s_branch .LBB4_16
.LBB4_19:
	s_endpgm
	.section	.rodata,"a",@progbits
	.p2align	6, 0x0
	.amdhsa_kernel _ZN2at6native13im2col_kernelIdEEvlPKT_llllllllllllPS2_
		.amdhsa_group_segment_fixed_size 0
		.amdhsa_private_segment_fixed_size 0
		.amdhsa_kernarg_size 376
		.amdhsa_user_sgpr_count 6
		.amdhsa_user_sgpr_private_segment_buffer 1
		.amdhsa_user_sgpr_dispatch_ptr 0
		.amdhsa_user_sgpr_queue_ptr 0
		.amdhsa_user_sgpr_kernarg_segment_ptr 1
		.amdhsa_user_sgpr_dispatch_id 0
		.amdhsa_user_sgpr_flat_scratch_init 0
		.amdhsa_user_sgpr_private_segment_size 0
		.amdhsa_uses_dynamic_stack 0
		.amdhsa_system_sgpr_private_segment_wavefront_offset 0
		.amdhsa_system_sgpr_workgroup_id_x 1
		.amdhsa_system_sgpr_workgroup_id_y 0
		.amdhsa_system_sgpr_workgroup_id_z 0
		.amdhsa_system_sgpr_workgroup_info 0
		.amdhsa_system_vgpr_workitem_id 0
		.amdhsa_next_free_vgpr 20
		.amdhsa_next_free_sgpr 65
		.amdhsa_reserve_vcc 1
		.amdhsa_reserve_flat_scratch 0
		.amdhsa_float_round_mode_32 0
		.amdhsa_float_round_mode_16_64 0
		.amdhsa_float_denorm_mode_32 3
		.amdhsa_float_denorm_mode_16_64 3
		.amdhsa_dx10_clamp 1
		.amdhsa_ieee_mode 1
		.amdhsa_fp16_overflow 0
		.amdhsa_exception_fp_ieee_invalid_op 0
		.amdhsa_exception_fp_denorm_src 0
		.amdhsa_exception_fp_ieee_div_zero 0
		.amdhsa_exception_fp_ieee_overflow 0
		.amdhsa_exception_fp_ieee_underflow 0
		.amdhsa_exception_fp_ieee_inexact 0
		.amdhsa_exception_int_div_zero 0
	.end_amdhsa_kernel
	.section	.text._ZN2at6native13im2col_kernelIdEEvlPKT_llllllllllllPS2_,"axG",@progbits,_ZN2at6native13im2col_kernelIdEEvlPKT_llllllllllllPS2_,comdat
.Lfunc_end4:
	.size	_ZN2at6native13im2col_kernelIdEEvlPKT_llllllllllllPS2_, .Lfunc_end4-_ZN2at6native13im2col_kernelIdEEvlPKT_llllllllllllPS2_
                                        ; -- End function
	.set _ZN2at6native13im2col_kernelIdEEvlPKT_llllllllllllPS2_.num_vgpr, 20
	.set _ZN2at6native13im2col_kernelIdEEvlPKT_llllllllllllPS2_.num_agpr, 0
	.set _ZN2at6native13im2col_kernelIdEEvlPKT_llllllllllllPS2_.numbered_sgpr, 65
	.set _ZN2at6native13im2col_kernelIdEEvlPKT_llllllllllllPS2_.num_named_barrier, 0
	.set _ZN2at6native13im2col_kernelIdEEvlPKT_llllllllllllPS2_.private_seg_size, 0
	.set _ZN2at6native13im2col_kernelIdEEvlPKT_llllllllllllPS2_.uses_vcc, 1
	.set _ZN2at6native13im2col_kernelIdEEvlPKT_llllllllllllPS2_.uses_flat_scratch, 0
	.set _ZN2at6native13im2col_kernelIdEEvlPKT_llllllllllllPS2_.has_dyn_sized_stack, 0
	.set _ZN2at6native13im2col_kernelIdEEvlPKT_llllllllllllPS2_.has_recursion, 0
	.set _ZN2at6native13im2col_kernelIdEEvlPKT_llllllllllllPS2_.has_indirect_call, 0
	.section	.AMDGPU.csdata,"",@progbits
; Kernel info:
; codeLenInByte = 2432
; TotalNumSgprs: 69
; NumVgprs: 20
; ScratchSize: 0
; MemoryBound: 0
; FloatMode: 240
; IeeeMode: 1
; LDSByteSize: 0 bytes/workgroup (compile time only)
; SGPRBlocks: 8
; VGPRBlocks: 4
; NumSGPRsForWavesPerEU: 69
; NumVGPRsForWavesPerEU: 20
; Occupancy: 10
; WaveLimiterHint : 0
; COMPUTE_PGM_RSRC2:SCRATCH_EN: 0
; COMPUTE_PGM_RSRC2:USER_SGPR: 6
; COMPUTE_PGM_RSRC2:TRAP_HANDLER: 0
; COMPUTE_PGM_RSRC2:TGID_X_EN: 1
; COMPUTE_PGM_RSRC2:TGID_Y_EN: 0
; COMPUTE_PGM_RSRC2:TGID_Z_EN: 0
; COMPUTE_PGM_RSRC2:TIDIG_COMP_CNT: 0
	.section	.text._ZN2at6native13im2col_kernelIfEEvlPKT_llllllllllllPS2_,"axG",@progbits,_ZN2at6native13im2col_kernelIfEEvlPKT_llllllllllllPS2_,comdat
	.protected	_ZN2at6native13im2col_kernelIfEEvlPKT_llllllllllllPS2_ ; -- Begin function _ZN2at6native13im2col_kernelIfEEvlPKT_llllllllllllPS2_
	.globl	_ZN2at6native13im2col_kernelIfEEvlPKT_llllllllllllPS2_
	.p2align	8
	.type	_ZN2at6native13im2col_kernelIfEEvlPKT_llllllllllllPS2_,@function
_ZN2at6native13im2col_kernelIfEEvlPKT_llllllllllllPS2_: ; @_ZN2at6native13im2col_kernelIfEEvlPKT_llllllllllllPS2_
; %bb.0:
	s_load_dword s2, s[4:5], 0x84
	s_load_dwordx16 s[8:23], s[4:5], 0x0
	s_add_u32 s0, s4, 0x78
	v_mov_b32_e32 v2, 0
	s_addc_u32 s1, s5, 0
	s_waitcnt lgkmcnt(0)
	s_and_b32 s2, s2, 0xffff
	v_mov_b32_e32 v1, v2
	v_mov_b32_e32 v3, s6
	v_mad_u64_u32 v[0:1], s[6:7], s2, v3, v[0:1]
	v_cmp_gt_i64_e32 vcc, s[8:9], v[0:1]
	s_and_saveexec_b64 s[6:7], vcc
	s_cbranch_execz .LBB5_19
; %bb.1:
	s_load_dwordx8 s[24:31], s[4:5], 0x60
	s_load_dwordx8 s[36:43], s[4:5], 0x40
	s_waitcnt lgkmcnt(0)
	v_cmp_gt_i64_e64 s[30:31], s[16:17], 0
	s_load_dword s0, s[0:1], 0x0
	v_cmp_gt_i64_e64 s[34:35], s[18:19], 0
	s_mul_i32 s3, s18, s25
	s_mul_hi_u32 s4, s18, s24
	s_mul_i32 s5, s19, s24
	s_mul_i32 s6, s18, s24
	s_add_i32 s3, s4, s3
	s_add_i32 s3, s3, s5
	s_mul_i32 s1, s6, s17
	s_mul_hi_u32 s4, s6, s16
	s_add_i32 s1, s4, s1
	s_mul_i32 s3, s3, s16
	s_add_i32 s33, s1, s3
	s_waitcnt lgkmcnt(0)
	s_mul_i32 s57, s0, s2
	s_lshl_b64 s[0:1], s[22:23], 2
	s_sub_u32 s0, 0, s0
	s_subb_u32 s1, 0, s1
	s_add_u32 s58, s10, s0
	s_addc_u32 s59, s11, s1
	s_mul_i32 s0, s40, s15
	s_mul_hi_u32 s1, s40, s14
	s_add_i32 s0, s1, s0
	s_mul_i32 s1, s41, s14
	s_add_i32 s1, s0, s1
	s_mul_i32 s0, s40, s14
	s_lshl_b64 s[46:47], s[0:1], 2
	s_mul_i32 s0, s26, s25
	s_mul_hi_u32 s1, s26, s24
	s_add_i32 s0, s1, s0
	s_mul_i32 s1, s27, s24
	s_add_i32 s1, s0, s1
	s_mul_i32 s0, s26, s24
	s_mul_i32 s56, s6, s16
	s_mov_b64 s[6:7], 0
	s_lshl_b64 s[10:11], s[14:15], 2
	s_lshl_b64 s[44:45], s[38:39], 2
	;; [unrolled: 1-line block ×4, first 2 shown]
	s_branch .LBB5_3
.LBB5_2:                                ;   in Loop: Header=BB5_3 Depth=1
	v_add_co_u32_e32 v0, vcc, s57, v0
	v_addc_co_u32_e32 v1, vcc, 0, v1, vcc
	v_cmp_le_i64_e32 vcc, s[8:9], v[0:1]
	s_or_b64 s[6:7], vcc, s[6:7]
	s_andn2_b64 exec, exec, s[6:7]
	s_cbranch_execz .LBB5_19
.LBB5_3:                                ; =>This Loop Header: Depth=1
                                        ;     Child Loop BB5_14 Depth 2
                                        ;       Child Loop BB5_17 Depth 3
	v_or_b32_e32 v3, s27, v1
	v_cmp_ne_u64_e32 vcc, 0, v[2:3]
                                        ; implicit-def: $vgpr4_vgpr5
	s_and_saveexec_b64 s[0:1], vcc
	s_xor_b64 s[2:3], exec, s[0:1]
	s_cbranch_execz .LBB5_5
; %bb.4:                                ;   in Loop: Header=BB5_3 Depth=1
	s_ashr_i32 s4, s27, 31
	s_add_u32 s0, s26, s4
	s_mov_b32 s5, s4
	s_addc_u32 s1, s27, s4
	s_xor_b64 s[52:53], s[0:1], s[4:5]
	v_cvt_f32_u32_e32 v3, s52
	v_cvt_f32_u32_e32 v4, s53
	s_sub_u32 s5, 0, s52
	s_subb_u32 s54, 0, s53
	v_ashrrev_i32_e32 v7, 31, v1
	v_mac_f32_e32 v3, 0x4f800000, v4
	v_rcp_f32_e32 v3, v3
	v_mul_f32_e32 v3, 0x5f7ffffc, v3
	v_mul_f32_e32 v4, 0x2f800000, v3
	v_trunc_f32_e32 v4, v4
	v_mac_f32_e32 v3, 0xcf800000, v4
	v_cvt_u32_f32_e32 v4, v4
	v_cvt_u32_f32_e32 v3, v3
	v_readfirstlane_b32 s55, v4
	v_readfirstlane_b32 s0, v3
	s_mul_i32 s1, s5, s55
	s_mul_hi_u32 s61, s5, s0
	s_mul_i32 s60, s54, s0
	s_add_i32 s1, s61, s1
	s_add_i32 s1, s1, s60
	s_mul_i32 s62, s5, s0
	s_mul_i32 s61, s0, s1
	s_mul_hi_u32 s63, s0, s62
	s_mul_hi_u32 s60, s0, s1
	s_add_u32 s61, s63, s61
	s_addc_u32 s60, 0, s60
	s_mul_hi_u32 s64, s55, s62
	s_mul_i32 s62, s55, s62
	s_add_u32 s61, s61, s62
	s_mul_hi_u32 s63, s55, s1
	s_addc_u32 s60, s60, s64
	s_addc_u32 s61, s63, 0
	s_mul_i32 s1, s55, s1
	s_add_u32 s1, s60, s1
	s_addc_u32 s60, 0, s61
	s_add_u32 s61, s0, s1
	s_cselect_b64 s[0:1], -1, 0
	s_cmp_lg_u64 s[0:1], 0
	s_addc_u32 s55, s55, s60
	s_mul_i32 s0, s5, s55
	s_mul_hi_u32 s1, s5, s61
	s_add_i32 s0, s1, s0
	s_mul_i32 s54, s54, s61
	s_add_i32 s0, s0, s54
	s_mul_i32 s5, s5, s61
	s_mul_hi_u32 s54, s55, s5
	s_mul_i32 s60, s55, s5
	s_mul_i32 s63, s61, s0
	s_mul_hi_u32 s5, s61, s5
	s_mul_hi_u32 s62, s61, s0
	s_add_u32 s5, s5, s63
	s_addc_u32 s62, 0, s62
	s_add_u32 s5, s5, s60
	s_mul_hi_u32 s1, s55, s0
	s_addc_u32 s5, s62, s54
	s_addc_u32 s1, s1, 0
	s_mul_i32 s0, s55, s0
	s_add_u32 s0, s5, s0
	s_addc_u32 s5, 0, s1
	s_add_u32 s54, s61, s0
	s_cselect_b64 s[0:1], -1, 0
	s_cmp_lg_u64 s[0:1], 0
	v_add_co_u32_e32 v3, vcc, v0, v7
	s_addc_u32 s5, s55, s5
	v_xor_b32_e32 v8, v3, v7
	v_mad_u64_u32 v[3:4], s[0:1], v8, s5, 0
	v_mul_hi_u32 v6, v8, s54
	v_addc_co_u32_e32 v5, vcc, v1, v7, vcc
	v_xor_b32_e32 v9, v5, v7
	v_add_co_u32_e32 v10, vcc, v6, v3
	v_addc_co_u32_e32 v11, vcc, 0, v4, vcc
	v_mad_u64_u32 v[3:4], s[0:1], v9, s54, 0
	v_mad_u64_u32 v[5:6], s[0:1], v9, s5, 0
	v_add_co_u32_e32 v3, vcc, v10, v3
	v_addc_co_u32_e32 v3, vcc, v11, v4, vcc
	v_addc_co_u32_e32 v4, vcc, 0, v6, vcc
	v_add_co_u32_e32 v5, vcc, v3, v5
	v_addc_co_u32_e32 v6, vcc, 0, v4, vcc
	v_mul_lo_u32 v10, s53, v5
	v_mul_lo_u32 v11, s52, v6
	v_mad_u64_u32 v[3:4], s[0:1], s52, v5, 0
	v_add3_u32 v4, v4, v11, v10
	v_sub_u32_e32 v10, v9, v4
	v_mov_b32_e32 v11, s53
	v_sub_co_u32_e32 v3, vcc, v8, v3
	v_subb_co_u32_e64 v8, s[0:1], v10, v11, vcc
	v_subrev_co_u32_e64 v10, s[0:1], s52, v3
	v_subbrev_co_u32_e64 v8, s[0:1], 0, v8, s[0:1]
	v_cmp_le_u32_e64 s[0:1], s53, v8
	v_cndmask_b32_e64 v11, 0, -1, s[0:1]
	v_cmp_le_u32_e64 s[0:1], s52, v10
	v_cndmask_b32_e64 v10, 0, -1, s[0:1]
	v_cmp_eq_u32_e64 s[0:1], s53, v8
	v_cndmask_b32_e64 v8, v11, v10, s[0:1]
	v_add_co_u32_e64 v10, s[0:1], 2, v5
	v_subb_co_u32_e32 v4, vcc, v9, v4, vcc
	v_addc_co_u32_e64 v11, s[0:1], 0, v6, s[0:1]
	v_cmp_le_u32_e32 vcc, s53, v4
	v_add_co_u32_e64 v12, s[0:1], 1, v5
	v_cndmask_b32_e64 v9, 0, -1, vcc
	v_cmp_le_u32_e32 vcc, s52, v3
	v_addc_co_u32_e64 v13, s[0:1], 0, v6, s[0:1]
	v_cndmask_b32_e64 v3, 0, -1, vcc
	v_cmp_eq_u32_e32 vcc, s53, v4
	v_cmp_ne_u32_e64 s[0:1], 0, v8
	v_cndmask_b32_e32 v3, v9, v3, vcc
	v_cmp_ne_u32_e32 vcc, 0, v3
	v_cndmask_b32_e64 v4, v12, v10, s[0:1]
	v_cndmask_b32_e64 v8, v13, v11, s[0:1]
	v_cndmask_b32_e32 v4, v5, v4, vcc
	v_xor_b32_e32 v5, s4, v7
	v_cndmask_b32_e32 v3, v6, v8, vcc
	v_xor_b32_e32 v4, v4, v5
	v_xor_b32_e32 v3, v3, v5
	v_sub_co_u32_e32 v4, vcc, v4, v5
	v_subb_co_u32_e32 v5, vcc, v3, v5, vcc
.LBB5_5:                                ;   in Loop: Header=BB5_3 Depth=1
	s_andn2_saveexec_b64 s[0:1], s[2:3]
	s_cbranch_execz .LBB5_7
; %bb.6:                                ;   in Loop: Header=BB5_3 Depth=1
	v_cvt_f32_u32_e32 v3, s26
	s_sub_i32 s2, 0, s26
	v_rcp_iflag_f32_e32 v3, v3
	v_mul_f32_e32 v3, 0x4f7ffffe, v3
	v_cvt_u32_f32_e32 v3, v3
	v_mul_lo_u32 v4, s2, v3
	v_mul_hi_u32 v4, v3, v4
	v_add_u32_e32 v3, v3, v4
	v_mul_hi_u32 v3, v0, v3
	v_mul_lo_u32 v4, v3, s26
	v_add_u32_e32 v5, 1, v3
	v_sub_u32_e32 v4, v0, v4
	v_subrev_u32_e32 v6, s26, v4
	v_cmp_le_u32_e32 vcc, s26, v4
	v_cndmask_b32_e32 v4, v4, v6, vcc
	v_cndmask_b32_e32 v3, v3, v5, vcc
	v_add_u32_e32 v5, 1, v3
	v_cmp_le_u32_e32 vcc, s26, v4
	v_cndmask_b32_e32 v4, v3, v5, vcc
	v_mov_b32_e32 v5, v2
.LBB5_7:                                ;   in Loop: Header=BB5_3 Depth=1
	s_or_b64 exec, exec, s[0:1]
	v_or_b32_e32 v3, s25, v5
	v_cmp_ne_u64_e32 vcc, 0, v[2:3]
                                        ; implicit-def: $vgpr6_vgpr7
	s_and_saveexec_b64 s[0:1], vcc
	s_xor_b64 s[2:3], exec, s[0:1]
	s_cbranch_execnz .LBB5_10
; %bb.8:                                ;   in Loop: Header=BB5_3 Depth=1
	s_andn2_saveexec_b64 s[0:1], s[2:3]
	s_cbranch_execnz .LBB5_11
.LBB5_9:                                ;   in Loop: Header=BB5_3 Depth=1
	s_or_b64 exec, exec, s[0:1]
	s_andn2_b64 vcc, exec, s[30:31]
	s_cbranch_vccz .LBB5_12
	s_branch .LBB5_2
.LBB5_10:                               ;   in Loop: Header=BB5_3 Depth=1
	s_ashr_i32 s4, s25, 31
	s_add_u32 s0, s24, s4
	s_mov_b32 s5, s4
	s_addc_u32 s1, s25, s4
	s_xor_b64 s[52:53], s[0:1], s[4:5]
	v_cvt_f32_u32_e32 v3, s52
	v_cvt_f32_u32_e32 v6, s53
	s_sub_u32 s5, 0, s52
	s_subb_u32 s54, 0, s53
	v_mac_f32_e32 v3, 0x4f800000, v6
	v_rcp_f32_e32 v3, v3
	v_mul_f32_e32 v3, 0x5f7ffffc, v3
	v_mul_f32_e32 v6, 0x2f800000, v3
	v_trunc_f32_e32 v6, v6
	v_mac_f32_e32 v3, 0xcf800000, v6
	v_cvt_u32_f32_e32 v6, v6
	v_cvt_u32_f32_e32 v3, v3
	v_readfirstlane_b32 s55, v6
	v_readfirstlane_b32 s0, v3
	s_mul_i32 s1, s5, s55
	s_mul_hi_u32 s61, s5, s0
	s_mul_i32 s60, s54, s0
	s_add_i32 s1, s61, s1
	s_add_i32 s1, s1, s60
	s_mul_i32 s62, s5, s0
	s_mul_i32 s61, s0, s1
	s_mul_hi_u32 s63, s0, s62
	s_mul_hi_u32 s60, s0, s1
	s_add_u32 s61, s63, s61
	s_addc_u32 s60, 0, s60
	s_mul_hi_u32 s64, s55, s62
	s_mul_i32 s62, s55, s62
	s_add_u32 s61, s61, s62
	s_mul_hi_u32 s63, s55, s1
	s_addc_u32 s60, s60, s64
	s_addc_u32 s61, s63, 0
	s_mul_i32 s1, s55, s1
	s_add_u32 s1, s60, s1
	s_addc_u32 s60, 0, s61
	s_add_u32 s61, s0, s1
	s_cselect_b64 s[0:1], -1, 0
	s_cmp_lg_u64 s[0:1], 0
	s_addc_u32 s55, s55, s60
	s_mul_i32 s0, s5, s55
	s_mul_hi_u32 s1, s5, s61
	s_add_i32 s0, s1, s0
	s_mul_i32 s54, s54, s61
	s_add_i32 s0, s0, s54
	s_mul_i32 s5, s5, s61
	s_mul_hi_u32 s54, s55, s5
	s_mul_i32 s60, s55, s5
	s_mul_i32 s63, s61, s0
	s_mul_hi_u32 s5, s61, s5
	s_mul_hi_u32 s62, s61, s0
	s_add_u32 s5, s5, s63
	s_addc_u32 s62, 0, s62
	s_add_u32 s5, s5, s60
	s_mul_hi_u32 s1, s55, s0
	s_addc_u32 s5, s62, s54
	s_addc_u32 s1, s1, 0
	s_mul_i32 s0, s55, s0
	s_add_u32 s0, s5, s0
	s_addc_u32 s5, 0, s1
	s_add_u32 s54, s61, s0
	s_cselect_b64 s[0:1], -1, 0
	v_ashrrev_i32_e32 v3, 31, v5
	s_cmp_lg_u64 s[0:1], 0
	v_add_co_u32_e32 v6, vcc, v4, v3
	s_addc_u32 s5, s55, s5
	v_xor_b32_e32 v10, v6, v3
	v_mad_u64_u32 v[6:7], s[0:1], v10, s5, 0
	v_mul_hi_u32 v9, v10, s54
	v_addc_co_u32_e32 v8, vcc, v5, v3, vcc
	v_xor_b32_e32 v11, v8, v3
	v_add_co_u32_e32 v12, vcc, v9, v6
	v_addc_co_u32_e32 v13, vcc, 0, v7, vcc
	v_mad_u64_u32 v[6:7], s[0:1], v11, s54, 0
	v_mad_u64_u32 v[8:9], s[0:1], v11, s5, 0
	v_add_co_u32_e32 v6, vcc, v12, v6
	v_addc_co_u32_e32 v6, vcc, v13, v7, vcc
	v_addc_co_u32_e32 v7, vcc, 0, v9, vcc
	v_add_co_u32_e32 v8, vcc, v6, v8
	v_addc_co_u32_e32 v9, vcc, 0, v7, vcc
	v_mul_lo_u32 v12, s53, v8
	v_mul_lo_u32 v13, s52, v9
	v_mad_u64_u32 v[6:7], s[0:1], s52, v8, 0
	v_xor_b32_e32 v3, s4, v3
	v_add3_u32 v7, v7, v13, v12
	v_sub_u32_e32 v12, v11, v7
	v_mov_b32_e32 v13, s53
	v_sub_co_u32_e32 v6, vcc, v10, v6
	v_subb_co_u32_e64 v10, s[0:1], v12, v13, vcc
	v_subrev_co_u32_e64 v12, s[0:1], s52, v6
	v_subbrev_co_u32_e64 v10, s[0:1], 0, v10, s[0:1]
	v_cmp_le_u32_e64 s[0:1], s53, v10
	v_cndmask_b32_e64 v13, 0, -1, s[0:1]
	v_cmp_le_u32_e64 s[0:1], s52, v12
	v_cndmask_b32_e64 v12, 0, -1, s[0:1]
	v_cmp_eq_u32_e64 s[0:1], s53, v10
	v_cndmask_b32_e64 v10, v13, v12, s[0:1]
	v_add_co_u32_e64 v12, s[0:1], 2, v8
	v_subb_co_u32_e32 v7, vcc, v11, v7, vcc
	v_addc_co_u32_e64 v13, s[0:1], 0, v9, s[0:1]
	v_cmp_le_u32_e32 vcc, s53, v7
	v_add_co_u32_e64 v14, s[0:1], 1, v8
	v_cndmask_b32_e64 v11, 0, -1, vcc
	v_cmp_le_u32_e32 vcc, s52, v6
	v_addc_co_u32_e64 v15, s[0:1], 0, v9, s[0:1]
	v_cndmask_b32_e64 v6, 0, -1, vcc
	v_cmp_eq_u32_e32 vcc, s53, v7
	v_cmp_ne_u32_e64 s[0:1], 0, v10
	v_cndmask_b32_e32 v6, v11, v6, vcc
	v_cndmask_b32_e64 v10, v15, v13, s[0:1]
	v_cmp_ne_u32_e32 vcc, 0, v6
	v_cndmask_b32_e64 v7, v14, v12, s[0:1]
	v_cndmask_b32_e32 v6, v9, v10, vcc
	v_cndmask_b32_e32 v7, v8, v7, vcc
	v_xor_b32_e32 v8, v6, v3
	v_xor_b32_e32 v6, v7, v3
	v_sub_co_u32_e32 v6, vcc, v6, v3
	v_subb_co_u32_e32 v7, vcc, v8, v3, vcc
	s_andn2_saveexec_b64 s[0:1], s[2:3]
	s_cbranch_execz .LBB5_9
.LBB5_11:                               ;   in Loop: Header=BB5_3 Depth=1
	v_cvt_f32_u32_e32 v3, s24
	s_sub_i32 s2, 0, s24
	v_rcp_iflag_f32_e32 v3, v3
	v_mul_f32_e32 v3, 0x4f7ffffe, v3
	v_cvt_u32_f32_e32 v3, v3
	v_mul_lo_u32 v6, s2, v3
	v_mul_hi_u32 v6, v3, v6
	v_add_u32_e32 v3, v3, v6
	v_mul_hi_u32 v3, v4, v3
	v_mul_lo_u32 v6, v3, s24
	v_add_u32_e32 v7, 1, v3
	v_sub_u32_e32 v6, v4, v6
	v_subrev_u32_e32 v8, s24, v6
	v_cmp_le_u32_e32 vcc, s24, v6
	v_cndmask_b32_e32 v6, v6, v8, vcc
	v_cndmask_b32_e32 v3, v3, v7, vcc
	v_add_u32_e32 v7, 1, v3
	v_cmp_le_u32_e32 vcc, s24, v6
	v_cndmask_b32_e32 v6, v3, v7, vcc
	v_mov_b32_e32 v7, v2
	s_or_b64 exec, exec, s[0:1]
	s_andn2_b64 vcc, exec, s[30:31]
	s_cbranch_vccnz .LBB5_2
.LBB5_12:                               ;   in Loop: Header=BB5_3 Depth=1
	v_mul_lo_u32 v3, v5, s26
	v_mul_lo_u32 v12, v4, s27
	v_mad_u64_u32 v[8:9], s[0:1], v4, s26, 0
	v_mul_lo_u32 v13, v7, s24
	v_mul_lo_u32 v14, v6, s25
	v_mad_u64_u32 v[10:11], s[0:1], v6, s24, 0
	v_add3_u32 v12, v9, v12, v3
	v_mul_lo_u32 v19, v7, s12
	v_add3_u32 v3, v11, v14, v13
	v_sub_co_u32_e32 v9, vcc, v4, v10
	v_subb_co_u32_e32 v10, vcc, v5, v3, vcc
	v_mul_lo_u32 v5, v10, s36
	v_mul_lo_u32 v13, v9, s37
	v_mad_u64_u32 v[3:4], s[0:1], v9, s36, 0
	v_sub_co_u32_e32 v11, vcc, v0, v8
	v_subb_co_u32_e32 v12, vcc, v1, v12, vcc
	v_add3_u32 v4, v4, v13, v5
	v_mul_lo_u32 v8, v12, s38
	v_mul_lo_u32 v15, v11, s39
	v_mad_u64_u32 v[13:14], s[0:1], v11, s38, 0
	v_mov_b32_e32 v5, s21
	v_subrev_co_u32_e32 v3, vcc, s20, v3
	v_subb_co_u32_e32 v4, vcc, v4, v5, vcc
	v_add3_u32 v16, v14, v15, v8
	v_mad_u64_u32 v[8:9], s[0:1], s56, v6, v[9:10]
	v_mul_lo_u32 v5, s56, v7
	v_mul_lo_u32 v10, s33, v6
	v_mov_b32_e32 v17, s23
	v_mad_u64_u32 v[14:15], s[0:1], v6, s12, v[3:4]
	v_add3_u32 v5, v10, v9, v5
	v_mul_lo_u32 v9, v8, s27
	v_mul_lo_u32 v10, v5, s26
	v_mad_u64_u32 v[7:8], s[0:1], v8, s26, 0
	v_subrev_co_u32_e32 v5, vcc, s22, v13
	v_mul_lo_u32 v18, v6, s13
	v_subb_co_u32_e32 v6, vcc, v16, v17, vcc
	v_add3_u32 v8, v8, v9, v10
	v_mul_lo_u32 v16, s45, v11
	v_mul_lo_u32 v17, s44, v12
	v_mad_u64_u32 v[9:10], s[0:1], s44, v11, 0
	v_lshlrev_b64 v[7:8], 2, v[7:8]
	v_add3_u32 v13, v19, v15, v18
	v_mov_b32_e32 v15, s29
	v_add_co_u32_e32 v18, vcc, s28, v7
	v_add3_u32 v10, v10, v17, v16
	v_addc_co_u32_e32 v15, vcc, v15, v8, vcc
	v_lshlrev_b64 v[7:8], 2, v[11:12]
	v_mad_u64_u32 v[9:10], s[0:1], s10, v14, v[9:10]
	v_mul_lo_u32 v11, s11, v14
	v_mul_lo_u32 v12, s10, v13
	v_add_co_u32_e32 v7, vcc, v18, v7
	v_addc_co_u32_e32 v8, vcc, v15, v8, vcc
	v_add3_u32 v10, v11, v10, v12
	v_mov_b32_e32 v11, s59
	v_add_co_u32_e32 v9, vcc, s58, v9
	v_addc_co_u32_e32 v10, vcc, v11, v10, vcc
	s_mov_b64 s[52:53], 0
	s_branch .LBB5_14
.LBB5_13:                               ;   in Loop: Header=BB5_14 Depth=2
	s_add_u32 s52, s52, 1
	s_addc_u32 s53, s53, 0
	v_mov_b32_e32 v11, s47
	v_add_co_u32_e32 v9, vcc, s46, v9
	s_cmp_eq_u64 s[52:53], s[16:17]
	v_addc_co_u32_e32 v10, vcc, v10, v11, vcc
	s_cbranch_scc1 .LBB5_2
.LBB5_14:                               ;   Parent Loop BB5_3 Depth=1
                                        ; =>  This Loop Header: Depth=2
                                        ;       Child Loop BB5_17 Depth 3
	s_andn2_b64 vcc, exec, s[34:35]
	s_cbranch_vccnz .LBB5_13
; %bb.15:                               ;   in Loop: Header=BB5_14 Depth=2
	v_mov_b32_e32 v11, s40
	v_mad_u64_u32 v[11:12], s[0:1], s52, v11, v[3:4]
	s_mul_i32 s0, s53, s40
	s_mul_i32 s1, s52, s41
	s_add_i32 s1, s1, s0
	v_add_u32_e32 v12, s1, v12
	v_cmp_lt_i64_e32 vcc, -1, v[11:12]
	v_cmp_gt_i64_e64 s[0:1], s[12:13], v[11:12]
	v_mov_b32_e32 v12, v6
	v_mov_b32_e32 v14, v10
	;; [unrolled: 1-line block ×4, first 2 shown]
	s_mov_b64 s[54:55], s[18:19]
	s_branch .LBB5_17
.LBB5_16:                               ;   in Loop: Header=BB5_17 Depth=3
	s_or_b64 exec, exec, s[2:3]
	s_waitcnt vmcnt(0)
	global_store_dword v[7:8], v15, off
	v_mov_b32_e32 v15, s49
	v_add_co_u32_e64 v13, s[2:3], s48, v13
	v_addc_co_u32_e64 v14, s[2:3], v14, v15, s[2:3]
	v_mov_b32_e32 v15, s43
	v_add_co_u32_e64 v11, s[2:3], s42, v11
	s_add_u32 s54, s54, -1
	v_addc_co_u32_e64 v12, s[2:3], v12, v15, s[2:3]
	s_addc_u32 s55, s55, -1
	v_mov_b32_e32 v15, s51
	v_add_co_u32_e64 v7, s[2:3], s50, v7
	s_cmp_eq_u64 s[54:55], 0
	v_addc_co_u32_e64 v8, s[2:3], v8, v15, s[2:3]
	s_cbranch_scc1 .LBB5_13
.LBB5_17:                               ;   Parent Loop BB5_3 Depth=1
                                        ;     Parent Loop BB5_14 Depth=2
                                        ; =>    This Inner Loop Header: Depth=3
	v_cmp_lt_i64_e64 s[2:3], -1, v[11:12]
	v_cmp_gt_i64_e64 s[4:5], s[14:15], v[11:12]
	s_and_b64 s[2:3], vcc, s[2:3]
	s_and_b64 s[2:3], s[0:1], s[2:3]
	s_and_b64 s[4:5], s[2:3], s[4:5]
	v_mov_b32_e32 v15, 0
	s_and_saveexec_b64 s[2:3], s[4:5]
	s_cbranch_execz .LBB5_16
; %bb.18:                               ;   in Loop: Header=BB5_17 Depth=3
	global_load_dword v15, v[13:14], off
	s_branch .LBB5_16
.LBB5_19:
	s_endpgm
	.section	.rodata,"a",@progbits
	.p2align	6, 0x0
	.amdhsa_kernel _ZN2at6native13im2col_kernelIfEEvlPKT_llllllllllllPS2_
		.amdhsa_group_segment_fixed_size 0
		.amdhsa_private_segment_fixed_size 0
		.amdhsa_kernarg_size 376
		.amdhsa_user_sgpr_count 6
		.amdhsa_user_sgpr_private_segment_buffer 1
		.amdhsa_user_sgpr_dispatch_ptr 0
		.amdhsa_user_sgpr_queue_ptr 0
		.amdhsa_user_sgpr_kernarg_segment_ptr 1
		.amdhsa_user_sgpr_dispatch_id 0
		.amdhsa_user_sgpr_flat_scratch_init 0
		.amdhsa_user_sgpr_private_segment_size 0
		.amdhsa_uses_dynamic_stack 0
		.amdhsa_system_sgpr_private_segment_wavefront_offset 0
		.amdhsa_system_sgpr_workgroup_id_x 1
		.amdhsa_system_sgpr_workgroup_id_y 0
		.amdhsa_system_sgpr_workgroup_id_z 0
		.amdhsa_system_sgpr_workgroup_info 0
		.amdhsa_system_vgpr_workitem_id 0
		.amdhsa_next_free_vgpr 20
		.amdhsa_next_free_sgpr 65
		.amdhsa_reserve_vcc 1
		.amdhsa_reserve_flat_scratch 0
		.amdhsa_float_round_mode_32 0
		.amdhsa_float_round_mode_16_64 0
		.amdhsa_float_denorm_mode_32 3
		.amdhsa_float_denorm_mode_16_64 3
		.amdhsa_dx10_clamp 1
		.amdhsa_ieee_mode 1
		.amdhsa_fp16_overflow 0
		.amdhsa_exception_fp_ieee_invalid_op 0
		.amdhsa_exception_fp_denorm_src 0
		.amdhsa_exception_fp_ieee_div_zero 0
		.amdhsa_exception_fp_ieee_overflow 0
		.amdhsa_exception_fp_ieee_underflow 0
		.amdhsa_exception_fp_ieee_inexact 0
		.amdhsa_exception_int_div_zero 0
	.end_amdhsa_kernel
	.section	.text._ZN2at6native13im2col_kernelIfEEvlPKT_llllllllllllPS2_,"axG",@progbits,_ZN2at6native13im2col_kernelIfEEvlPKT_llllllllllllPS2_,comdat
.Lfunc_end5:
	.size	_ZN2at6native13im2col_kernelIfEEvlPKT_llllllllllllPS2_, .Lfunc_end5-_ZN2at6native13im2col_kernelIfEEvlPKT_llllllllllllPS2_
                                        ; -- End function
	.set _ZN2at6native13im2col_kernelIfEEvlPKT_llllllllllllPS2_.num_vgpr, 20
	.set _ZN2at6native13im2col_kernelIfEEvlPKT_llllllllllllPS2_.num_agpr, 0
	.set _ZN2at6native13im2col_kernelIfEEvlPKT_llllllllllllPS2_.numbered_sgpr, 65
	.set _ZN2at6native13im2col_kernelIfEEvlPKT_llllllllllllPS2_.num_named_barrier, 0
	.set _ZN2at6native13im2col_kernelIfEEvlPKT_llllllllllllPS2_.private_seg_size, 0
	.set _ZN2at6native13im2col_kernelIfEEvlPKT_llllllllllllPS2_.uses_vcc, 1
	.set _ZN2at6native13im2col_kernelIfEEvlPKT_llllllllllllPS2_.uses_flat_scratch, 0
	.set _ZN2at6native13im2col_kernelIfEEvlPKT_llllllllllllPS2_.has_dyn_sized_stack, 0
	.set _ZN2at6native13im2col_kernelIfEEvlPKT_llllllllllllPS2_.has_recursion, 0
	.set _ZN2at6native13im2col_kernelIfEEvlPKT_llllllllllllPS2_.has_indirect_call, 0
	.section	.AMDGPU.csdata,"",@progbits
; Kernel info:
; codeLenInByte = 2428
; TotalNumSgprs: 69
; NumVgprs: 20
; ScratchSize: 0
; MemoryBound: 0
; FloatMode: 240
; IeeeMode: 1
; LDSByteSize: 0 bytes/workgroup (compile time only)
; SGPRBlocks: 8
; VGPRBlocks: 4
; NumSGPRsForWavesPerEU: 69
; NumVGPRsForWavesPerEU: 20
; Occupancy: 10
; WaveLimiterHint : 0
; COMPUTE_PGM_RSRC2:SCRATCH_EN: 0
; COMPUTE_PGM_RSRC2:USER_SGPR: 6
; COMPUTE_PGM_RSRC2:TRAP_HANDLER: 0
; COMPUTE_PGM_RSRC2:TGID_X_EN: 1
; COMPUTE_PGM_RSRC2:TGID_Y_EN: 0
; COMPUTE_PGM_RSRC2:TGID_Z_EN: 0
; COMPUTE_PGM_RSRC2:TIDIG_COMP_CNT: 0
	.section	.text._ZN2at6native13im2col_kernelIN3c104HalfEEEvlPKT_llllllllllllPS4_,"axG",@progbits,_ZN2at6native13im2col_kernelIN3c104HalfEEEvlPKT_llllllllllllPS4_,comdat
	.protected	_ZN2at6native13im2col_kernelIN3c104HalfEEEvlPKT_llllllllllllPS4_ ; -- Begin function _ZN2at6native13im2col_kernelIN3c104HalfEEEvlPKT_llllllllllllPS4_
	.globl	_ZN2at6native13im2col_kernelIN3c104HalfEEEvlPKT_llllllllllllPS4_
	.p2align	8
	.type	_ZN2at6native13im2col_kernelIN3c104HalfEEEvlPKT_llllllllllllPS4_,@function
_ZN2at6native13im2col_kernelIN3c104HalfEEEvlPKT_llllllllllllPS4_: ; @_ZN2at6native13im2col_kernelIN3c104HalfEEEvlPKT_llllllllllllPS4_
; %bb.0:
	s_load_dword s2, s[4:5], 0x84
	s_load_dwordx16 s[8:23], s[4:5], 0x0
	s_add_u32 s0, s4, 0x78
	v_mov_b32_e32 v2, 0
	s_addc_u32 s1, s5, 0
	s_waitcnt lgkmcnt(0)
	s_and_b32 s2, s2, 0xffff
	v_mov_b32_e32 v1, v2
	v_mov_b32_e32 v3, s6
	v_mad_u64_u32 v[0:1], s[6:7], s2, v3, v[0:1]
	v_cmp_gt_i64_e32 vcc, s[8:9], v[0:1]
	s_and_saveexec_b64 s[6:7], vcc
	s_cbranch_execz .LBB6_19
; %bb.1:
	s_load_dwordx8 s[24:31], s[4:5], 0x60
	s_load_dwordx8 s[36:43], s[4:5], 0x40
	s_waitcnt lgkmcnt(0)
	v_cmp_gt_i64_e64 s[30:31], s[16:17], 0
	s_load_dword s0, s[0:1], 0x0
	v_cmp_gt_i64_e64 s[34:35], s[18:19], 0
	s_mul_i32 s3, s18, s25
	s_mul_hi_u32 s4, s18, s24
	s_mul_i32 s5, s19, s24
	s_mul_i32 s6, s18, s24
	s_add_i32 s3, s4, s3
	s_add_i32 s3, s3, s5
	s_mul_i32 s1, s6, s17
	s_mul_hi_u32 s4, s6, s16
	s_add_i32 s1, s4, s1
	s_mul_i32 s3, s3, s16
	s_add_i32 s33, s1, s3
	s_waitcnt lgkmcnt(0)
	s_mul_i32 s57, s0, s2
	s_lshl_b64 s[0:1], s[22:23], 1
	s_sub_u32 s0, 0, s0
	s_subb_u32 s1, 0, s1
	s_add_u32 s58, s10, s0
	s_addc_u32 s59, s11, s1
	s_mul_i32 s0, s40, s15
	s_mul_hi_u32 s1, s40, s14
	s_add_i32 s0, s1, s0
	s_mul_i32 s1, s41, s14
	s_add_i32 s1, s0, s1
	s_mul_i32 s0, s40, s14
	s_lshl_b64 s[46:47], s[0:1], 1
	s_mul_i32 s0, s26, s25
	s_mul_hi_u32 s1, s26, s24
	s_add_i32 s0, s1, s0
	s_mul_i32 s1, s27, s24
	s_add_i32 s1, s0, s1
	s_mul_i32 s0, s26, s24
	s_mul_i32 s56, s6, s16
	s_mov_b64 s[6:7], 0
	s_lshl_b64 s[10:11], s[14:15], 1
	s_lshl_b64 s[44:45], s[38:39], 1
	;; [unrolled: 1-line block ×4, first 2 shown]
	s_branch .LBB6_3
.LBB6_2:                                ;   in Loop: Header=BB6_3 Depth=1
	v_add_co_u32_e32 v0, vcc, s57, v0
	v_addc_co_u32_e32 v1, vcc, 0, v1, vcc
	v_cmp_le_i64_e32 vcc, s[8:9], v[0:1]
	s_or_b64 s[6:7], vcc, s[6:7]
	s_andn2_b64 exec, exec, s[6:7]
	s_cbranch_execz .LBB6_19
.LBB6_3:                                ; =>This Loop Header: Depth=1
                                        ;     Child Loop BB6_14 Depth 2
                                        ;       Child Loop BB6_17 Depth 3
	v_or_b32_e32 v3, s27, v1
	v_cmp_ne_u64_e32 vcc, 0, v[2:3]
                                        ; implicit-def: $vgpr4_vgpr5
	s_and_saveexec_b64 s[0:1], vcc
	s_xor_b64 s[2:3], exec, s[0:1]
	s_cbranch_execz .LBB6_5
; %bb.4:                                ;   in Loop: Header=BB6_3 Depth=1
	s_ashr_i32 s4, s27, 31
	s_add_u32 s0, s26, s4
	s_mov_b32 s5, s4
	s_addc_u32 s1, s27, s4
	s_xor_b64 s[52:53], s[0:1], s[4:5]
	v_cvt_f32_u32_e32 v3, s52
	v_cvt_f32_u32_e32 v4, s53
	s_sub_u32 s5, 0, s52
	s_subb_u32 s54, 0, s53
	v_ashrrev_i32_e32 v7, 31, v1
	v_mac_f32_e32 v3, 0x4f800000, v4
	v_rcp_f32_e32 v3, v3
	v_mul_f32_e32 v3, 0x5f7ffffc, v3
	v_mul_f32_e32 v4, 0x2f800000, v3
	v_trunc_f32_e32 v4, v4
	v_mac_f32_e32 v3, 0xcf800000, v4
	v_cvt_u32_f32_e32 v4, v4
	v_cvt_u32_f32_e32 v3, v3
	v_readfirstlane_b32 s55, v4
	v_readfirstlane_b32 s0, v3
	s_mul_i32 s1, s5, s55
	s_mul_hi_u32 s61, s5, s0
	s_mul_i32 s60, s54, s0
	s_add_i32 s1, s61, s1
	s_add_i32 s1, s1, s60
	s_mul_i32 s62, s5, s0
	s_mul_i32 s61, s0, s1
	s_mul_hi_u32 s63, s0, s62
	s_mul_hi_u32 s60, s0, s1
	s_add_u32 s61, s63, s61
	s_addc_u32 s60, 0, s60
	s_mul_hi_u32 s64, s55, s62
	s_mul_i32 s62, s55, s62
	s_add_u32 s61, s61, s62
	s_mul_hi_u32 s63, s55, s1
	s_addc_u32 s60, s60, s64
	s_addc_u32 s61, s63, 0
	s_mul_i32 s1, s55, s1
	s_add_u32 s1, s60, s1
	s_addc_u32 s60, 0, s61
	s_add_u32 s61, s0, s1
	s_cselect_b64 s[0:1], -1, 0
	s_cmp_lg_u64 s[0:1], 0
	s_addc_u32 s55, s55, s60
	s_mul_i32 s0, s5, s55
	s_mul_hi_u32 s1, s5, s61
	s_add_i32 s0, s1, s0
	s_mul_i32 s54, s54, s61
	s_add_i32 s0, s0, s54
	s_mul_i32 s5, s5, s61
	s_mul_hi_u32 s54, s55, s5
	s_mul_i32 s60, s55, s5
	s_mul_i32 s63, s61, s0
	s_mul_hi_u32 s5, s61, s5
	s_mul_hi_u32 s62, s61, s0
	s_add_u32 s5, s5, s63
	s_addc_u32 s62, 0, s62
	s_add_u32 s5, s5, s60
	s_mul_hi_u32 s1, s55, s0
	s_addc_u32 s5, s62, s54
	s_addc_u32 s1, s1, 0
	s_mul_i32 s0, s55, s0
	s_add_u32 s0, s5, s0
	s_addc_u32 s5, 0, s1
	s_add_u32 s54, s61, s0
	s_cselect_b64 s[0:1], -1, 0
	s_cmp_lg_u64 s[0:1], 0
	v_add_co_u32_e32 v3, vcc, v0, v7
	s_addc_u32 s5, s55, s5
	v_xor_b32_e32 v8, v3, v7
	v_mad_u64_u32 v[3:4], s[0:1], v8, s5, 0
	v_mul_hi_u32 v6, v8, s54
	v_addc_co_u32_e32 v5, vcc, v1, v7, vcc
	v_xor_b32_e32 v9, v5, v7
	v_add_co_u32_e32 v10, vcc, v6, v3
	v_addc_co_u32_e32 v11, vcc, 0, v4, vcc
	v_mad_u64_u32 v[3:4], s[0:1], v9, s54, 0
	v_mad_u64_u32 v[5:6], s[0:1], v9, s5, 0
	v_add_co_u32_e32 v3, vcc, v10, v3
	v_addc_co_u32_e32 v3, vcc, v11, v4, vcc
	v_addc_co_u32_e32 v4, vcc, 0, v6, vcc
	v_add_co_u32_e32 v5, vcc, v3, v5
	v_addc_co_u32_e32 v6, vcc, 0, v4, vcc
	v_mul_lo_u32 v10, s53, v5
	v_mul_lo_u32 v11, s52, v6
	v_mad_u64_u32 v[3:4], s[0:1], s52, v5, 0
	v_add3_u32 v4, v4, v11, v10
	v_sub_u32_e32 v10, v9, v4
	v_mov_b32_e32 v11, s53
	v_sub_co_u32_e32 v3, vcc, v8, v3
	v_subb_co_u32_e64 v8, s[0:1], v10, v11, vcc
	v_subrev_co_u32_e64 v10, s[0:1], s52, v3
	v_subbrev_co_u32_e64 v8, s[0:1], 0, v8, s[0:1]
	v_cmp_le_u32_e64 s[0:1], s53, v8
	v_cndmask_b32_e64 v11, 0, -1, s[0:1]
	v_cmp_le_u32_e64 s[0:1], s52, v10
	v_cndmask_b32_e64 v10, 0, -1, s[0:1]
	v_cmp_eq_u32_e64 s[0:1], s53, v8
	v_cndmask_b32_e64 v8, v11, v10, s[0:1]
	v_add_co_u32_e64 v10, s[0:1], 2, v5
	v_subb_co_u32_e32 v4, vcc, v9, v4, vcc
	v_addc_co_u32_e64 v11, s[0:1], 0, v6, s[0:1]
	v_cmp_le_u32_e32 vcc, s53, v4
	v_add_co_u32_e64 v12, s[0:1], 1, v5
	v_cndmask_b32_e64 v9, 0, -1, vcc
	v_cmp_le_u32_e32 vcc, s52, v3
	v_addc_co_u32_e64 v13, s[0:1], 0, v6, s[0:1]
	v_cndmask_b32_e64 v3, 0, -1, vcc
	v_cmp_eq_u32_e32 vcc, s53, v4
	v_cmp_ne_u32_e64 s[0:1], 0, v8
	v_cndmask_b32_e32 v3, v9, v3, vcc
	v_cmp_ne_u32_e32 vcc, 0, v3
	v_cndmask_b32_e64 v4, v12, v10, s[0:1]
	v_cndmask_b32_e64 v8, v13, v11, s[0:1]
	v_cndmask_b32_e32 v4, v5, v4, vcc
	v_xor_b32_e32 v5, s4, v7
	v_cndmask_b32_e32 v3, v6, v8, vcc
	v_xor_b32_e32 v4, v4, v5
	v_xor_b32_e32 v3, v3, v5
	v_sub_co_u32_e32 v4, vcc, v4, v5
	v_subb_co_u32_e32 v5, vcc, v3, v5, vcc
.LBB6_5:                                ;   in Loop: Header=BB6_3 Depth=1
	s_andn2_saveexec_b64 s[0:1], s[2:3]
	s_cbranch_execz .LBB6_7
; %bb.6:                                ;   in Loop: Header=BB6_3 Depth=1
	v_cvt_f32_u32_e32 v3, s26
	s_sub_i32 s2, 0, s26
	v_rcp_iflag_f32_e32 v3, v3
	v_mul_f32_e32 v3, 0x4f7ffffe, v3
	v_cvt_u32_f32_e32 v3, v3
	v_mul_lo_u32 v4, s2, v3
	v_mul_hi_u32 v4, v3, v4
	v_add_u32_e32 v3, v3, v4
	v_mul_hi_u32 v3, v0, v3
	v_mul_lo_u32 v4, v3, s26
	v_add_u32_e32 v5, 1, v3
	v_sub_u32_e32 v4, v0, v4
	v_subrev_u32_e32 v6, s26, v4
	v_cmp_le_u32_e32 vcc, s26, v4
	v_cndmask_b32_e32 v4, v4, v6, vcc
	v_cndmask_b32_e32 v3, v3, v5, vcc
	v_add_u32_e32 v5, 1, v3
	v_cmp_le_u32_e32 vcc, s26, v4
	v_cndmask_b32_e32 v4, v3, v5, vcc
	v_mov_b32_e32 v5, v2
.LBB6_7:                                ;   in Loop: Header=BB6_3 Depth=1
	s_or_b64 exec, exec, s[0:1]
	v_or_b32_e32 v3, s25, v5
	v_cmp_ne_u64_e32 vcc, 0, v[2:3]
                                        ; implicit-def: $vgpr6_vgpr7
	s_and_saveexec_b64 s[0:1], vcc
	s_xor_b64 s[2:3], exec, s[0:1]
	s_cbranch_execnz .LBB6_10
; %bb.8:                                ;   in Loop: Header=BB6_3 Depth=1
	s_andn2_saveexec_b64 s[0:1], s[2:3]
	s_cbranch_execnz .LBB6_11
.LBB6_9:                                ;   in Loop: Header=BB6_3 Depth=1
	s_or_b64 exec, exec, s[0:1]
	s_andn2_b64 vcc, exec, s[30:31]
	s_cbranch_vccz .LBB6_12
	s_branch .LBB6_2
.LBB6_10:                               ;   in Loop: Header=BB6_3 Depth=1
	s_ashr_i32 s4, s25, 31
	s_add_u32 s0, s24, s4
	s_mov_b32 s5, s4
	s_addc_u32 s1, s25, s4
	s_xor_b64 s[52:53], s[0:1], s[4:5]
	v_cvt_f32_u32_e32 v3, s52
	v_cvt_f32_u32_e32 v6, s53
	s_sub_u32 s5, 0, s52
	s_subb_u32 s54, 0, s53
	v_mac_f32_e32 v3, 0x4f800000, v6
	v_rcp_f32_e32 v3, v3
	v_mul_f32_e32 v3, 0x5f7ffffc, v3
	v_mul_f32_e32 v6, 0x2f800000, v3
	v_trunc_f32_e32 v6, v6
	v_mac_f32_e32 v3, 0xcf800000, v6
	v_cvt_u32_f32_e32 v6, v6
	v_cvt_u32_f32_e32 v3, v3
	v_readfirstlane_b32 s55, v6
	v_readfirstlane_b32 s0, v3
	s_mul_i32 s1, s5, s55
	s_mul_hi_u32 s61, s5, s0
	s_mul_i32 s60, s54, s0
	s_add_i32 s1, s61, s1
	s_add_i32 s1, s1, s60
	s_mul_i32 s62, s5, s0
	s_mul_i32 s61, s0, s1
	s_mul_hi_u32 s63, s0, s62
	s_mul_hi_u32 s60, s0, s1
	s_add_u32 s61, s63, s61
	s_addc_u32 s60, 0, s60
	s_mul_hi_u32 s64, s55, s62
	s_mul_i32 s62, s55, s62
	s_add_u32 s61, s61, s62
	s_mul_hi_u32 s63, s55, s1
	s_addc_u32 s60, s60, s64
	s_addc_u32 s61, s63, 0
	s_mul_i32 s1, s55, s1
	s_add_u32 s1, s60, s1
	s_addc_u32 s60, 0, s61
	s_add_u32 s61, s0, s1
	s_cselect_b64 s[0:1], -1, 0
	s_cmp_lg_u64 s[0:1], 0
	s_addc_u32 s55, s55, s60
	s_mul_i32 s0, s5, s55
	s_mul_hi_u32 s1, s5, s61
	s_add_i32 s0, s1, s0
	s_mul_i32 s54, s54, s61
	s_add_i32 s0, s0, s54
	s_mul_i32 s5, s5, s61
	s_mul_hi_u32 s54, s55, s5
	s_mul_i32 s60, s55, s5
	s_mul_i32 s63, s61, s0
	s_mul_hi_u32 s5, s61, s5
	s_mul_hi_u32 s62, s61, s0
	s_add_u32 s5, s5, s63
	s_addc_u32 s62, 0, s62
	s_add_u32 s5, s5, s60
	s_mul_hi_u32 s1, s55, s0
	s_addc_u32 s5, s62, s54
	s_addc_u32 s1, s1, 0
	s_mul_i32 s0, s55, s0
	s_add_u32 s0, s5, s0
	s_addc_u32 s5, 0, s1
	s_add_u32 s54, s61, s0
	s_cselect_b64 s[0:1], -1, 0
	v_ashrrev_i32_e32 v3, 31, v5
	s_cmp_lg_u64 s[0:1], 0
	v_add_co_u32_e32 v6, vcc, v4, v3
	s_addc_u32 s5, s55, s5
	v_xor_b32_e32 v10, v6, v3
	v_mad_u64_u32 v[6:7], s[0:1], v10, s5, 0
	v_mul_hi_u32 v9, v10, s54
	v_addc_co_u32_e32 v8, vcc, v5, v3, vcc
	v_xor_b32_e32 v11, v8, v3
	v_add_co_u32_e32 v12, vcc, v9, v6
	v_addc_co_u32_e32 v13, vcc, 0, v7, vcc
	v_mad_u64_u32 v[6:7], s[0:1], v11, s54, 0
	v_mad_u64_u32 v[8:9], s[0:1], v11, s5, 0
	v_add_co_u32_e32 v6, vcc, v12, v6
	v_addc_co_u32_e32 v6, vcc, v13, v7, vcc
	v_addc_co_u32_e32 v7, vcc, 0, v9, vcc
	v_add_co_u32_e32 v8, vcc, v6, v8
	v_addc_co_u32_e32 v9, vcc, 0, v7, vcc
	v_mul_lo_u32 v12, s53, v8
	v_mul_lo_u32 v13, s52, v9
	v_mad_u64_u32 v[6:7], s[0:1], s52, v8, 0
	v_xor_b32_e32 v3, s4, v3
	v_add3_u32 v7, v7, v13, v12
	v_sub_u32_e32 v12, v11, v7
	v_mov_b32_e32 v13, s53
	v_sub_co_u32_e32 v6, vcc, v10, v6
	v_subb_co_u32_e64 v10, s[0:1], v12, v13, vcc
	v_subrev_co_u32_e64 v12, s[0:1], s52, v6
	v_subbrev_co_u32_e64 v10, s[0:1], 0, v10, s[0:1]
	v_cmp_le_u32_e64 s[0:1], s53, v10
	v_cndmask_b32_e64 v13, 0, -1, s[0:1]
	v_cmp_le_u32_e64 s[0:1], s52, v12
	v_cndmask_b32_e64 v12, 0, -1, s[0:1]
	v_cmp_eq_u32_e64 s[0:1], s53, v10
	v_cndmask_b32_e64 v10, v13, v12, s[0:1]
	v_add_co_u32_e64 v12, s[0:1], 2, v8
	v_subb_co_u32_e32 v7, vcc, v11, v7, vcc
	v_addc_co_u32_e64 v13, s[0:1], 0, v9, s[0:1]
	v_cmp_le_u32_e32 vcc, s53, v7
	v_add_co_u32_e64 v14, s[0:1], 1, v8
	v_cndmask_b32_e64 v11, 0, -1, vcc
	v_cmp_le_u32_e32 vcc, s52, v6
	v_addc_co_u32_e64 v15, s[0:1], 0, v9, s[0:1]
	v_cndmask_b32_e64 v6, 0, -1, vcc
	v_cmp_eq_u32_e32 vcc, s53, v7
	v_cmp_ne_u32_e64 s[0:1], 0, v10
	v_cndmask_b32_e32 v6, v11, v6, vcc
	v_cndmask_b32_e64 v10, v15, v13, s[0:1]
	v_cmp_ne_u32_e32 vcc, 0, v6
	v_cndmask_b32_e64 v7, v14, v12, s[0:1]
	v_cndmask_b32_e32 v6, v9, v10, vcc
	v_cndmask_b32_e32 v7, v8, v7, vcc
	v_xor_b32_e32 v8, v6, v3
	v_xor_b32_e32 v6, v7, v3
	v_sub_co_u32_e32 v6, vcc, v6, v3
	v_subb_co_u32_e32 v7, vcc, v8, v3, vcc
	s_andn2_saveexec_b64 s[0:1], s[2:3]
	s_cbranch_execz .LBB6_9
.LBB6_11:                               ;   in Loop: Header=BB6_3 Depth=1
	v_cvt_f32_u32_e32 v3, s24
	s_sub_i32 s2, 0, s24
	v_rcp_iflag_f32_e32 v3, v3
	v_mul_f32_e32 v3, 0x4f7ffffe, v3
	v_cvt_u32_f32_e32 v3, v3
	v_mul_lo_u32 v6, s2, v3
	v_mul_hi_u32 v6, v3, v6
	v_add_u32_e32 v3, v3, v6
	v_mul_hi_u32 v3, v4, v3
	v_mul_lo_u32 v6, v3, s24
	v_add_u32_e32 v7, 1, v3
	v_sub_u32_e32 v6, v4, v6
	v_subrev_u32_e32 v8, s24, v6
	v_cmp_le_u32_e32 vcc, s24, v6
	v_cndmask_b32_e32 v6, v6, v8, vcc
	v_cndmask_b32_e32 v3, v3, v7, vcc
	v_add_u32_e32 v7, 1, v3
	v_cmp_le_u32_e32 vcc, s24, v6
	v_cndmask_b32_e32 v6, v3, v7, vcc
	v_mov_b32_e32 v7, v2
	s_or_b64 exec, exec, s[0:1]
	s_andn2_b64 vcc, exec, s[30:31]
	s_cbranch_vccnz .LBB6_2
.LBB6_12:                               ;   in Loop: Header=BB6_3 Depth=1
	v_mul_lo_u32 v3, v5, s26
	v_mul_lo_u32 v12, v4, s27
	v_mad_u64_u32 v[8:9], s[0:1], v4, s26, 0
	v_mul_lo_u32 v13, v7, s24
	v_mul_lo_u32 v14, v6, s25
	v_mad_u64_u32 v[10:11], s[0:1], v6, s24, 0
	v_add3_u32 v12, v9, v12, v3
	v_mul_lo_u32 v19, v7, s12
	v_add3_u32 v3, v11, v14, v13
	v_sub_co_u32_e32 v9, vcc, v4, v10
	v_subb_co_u32_e32 v10, vcc, v5, v3, vcc
	v_mul_lo_u32 v5, v10, s36
	v_mul_lo_u32 v13, v9, s37
	v_mad_u64_u32 v[3:4], s[0:1], v9, s36, 0
	v_sub_co_u32_e32 v11, vcc, v0, v8
	v_subb_co_u32_e32 v12, vcc, v1, v12, vcc
	v_add3_u32 v4, v4, v13, v5
	v_mul_lo_u32 v8, v12, s38
	v_mul_lo_u32 v15, v11, s39
	v_mad_u64_u32 v[13:14], s[0:1], v11, s38, 0
	v_mov_b32_e32 v5, s21
	v_subrev_co_u32_e32 v3, vcc, s20, v3
	v_subb_co_u32_e32 v4, vcc, v4, v5, vcc
	v_add3_u32 v16, v14, v15, v8
	v_mad_u64_u32 v[8:9], s[0:1], s56, v6, v[9:10]
	v_mul_lo_u32 v5, s56, v7
	v_mul_lo_u32 v10, s33, v6
	v_mov_b32_e32 v17, s23
	v_mad_u64_u32 v[14:15], s[0:1], v6, s12, v[3:4]
	v_add3_u32 v5, v10, v9, v5
	v_mul_lo_u32 v9, v8, s27
	v_mul_lo_u32 v10, v5, s26
	v_mad_u64_u32 v[7:8], s[0:1], v8, s26, 0
	v_subrev_co_u32_e32 v5, vcc, s22, v13
	v_mul_lo_u32 v18, v6, s13
	v_subb_co_u32_e32 v6, vcc, v16, v17, vcc
	v_add3_u32 v8, v8, v9, v10
	v_mul_lo_u32 v16, s45, v11
	v_mul_lo_u32 v17, s44, v12
	v_mad_u64_u32 v[9:10], s[0:1], s44, v11, 0
	v_lshlrev_b64 v[7:8], 1, v[7:8]
	v_add3_u32 v13, v19, v15, v18
	v_mov_b32_e32 v15, s29
	v_add_co_u32_e32 v18, vcc, s28, v7
	v_add3_u32 v10, v10, v17, v16
	v_addc_co_u32_e32 v15, vcc, v15, v8, vcc
	v_lshlrev_b64 v[7:8], 1, v[11:12]
	v_mad_u64_u32 v[9:10], s[0:1], s10, v14, v[9:10]
	v_mul_lo_u32 v11, s11, v14
	v_mul_lo_u32 v12, s10, v13
	v_add_co_u32_e32 v7, vcc, v18, v7
	v_addc_co_u32_e32 v8, vcc, v15, v8, vcc
	v_add3_u32 v10, v11, v10, v12
	v_mov_b32_e32 v11, s59
	v_add_co_u32_e32 v9, vcc, s58, v9
	v_addc_co_u32_e32 v10, vcc, v11, v10, vcc
	s_mov_b64 s[52:53], 0
	s_branch .LBB6_14
.LBB6_13:                               ;   in Loop: Header=BB6_14 Depth=2
	s_add_u32 s52, s52, 1
	s_addc_u32 s53, s53, 0
	v_mov_b32_e32 v11, s47
	v_add_co_u32_e32 v9, vcc, s46, v9
	s_cmp_eq_u64 s[52:53], s[16:17]
	v_addc_co_u32_e32 v10, vcc, v10, v11, vcc
	s_cbranch_scc1 .LBB6_2
.LBB6_14:                               ;   Parent Loop BB6_3 Depth=1
                                        ; =>  This Loop Header: Depth=2
                                        ;       Child Loop BB6_17 Depth 3
	s_andn2_b64 vcc, exec, s[34:35]
	s_cbranch_vccnz .LBB6_13
; %bb.15:                               ;   in Loop: Header=BB6_14 Depth=2
	v_mov_b32_e32 v11, s40
	v_mad_u64_u32 v[11:12], s[0:1], s52, v11, v[3:4]
	s_mul_i32 s0, s53, s40
	s_mul_i32 s1, s52, s41
	s_add_i32 s1, s1, s0
	v_add_u32_e32 v12, s1, v12
	v_cmp_lt_i64_e32 vcc, -1, v[11:12]
	v_cmp_gt_i64_e64 s[0:1], s[12:13], v[11:12]
	v_mov_b32_e32 v12, v6
	v_mov_b32_e32 v14, v10
	;; [unrolled: 1-line block ×4, first 2 shown]
	s_mov_b64 s[54:55], s[18:19]
	s_branch .LBB6_17
.LBB6_16:                               ;   in Loop: Header=BB6_17 Depth=3
	s_or_b64 exec, exec, s[2:3]
	s_waitcnt vmcnt(0)
	global_store_short v[7:8], v15, off
	v_mov_b32_e32 v15, s49
	v_add_co_u32_e64 v13, s[2:3], s48, v13
	v_addc_co_u32_e64 v14, s[2:3], v14, v15, s[2:3]
	v_mov_b32_e32 v15, s43
	v_add_co_u32_e64 v11, s[2:3], s42, v11
	s_add_u32 s54, s54, -1
	v_addc_co_u32_e64 v12, s[2:3], v12, v15, s[2:3]
	s_addc_u32 s55, s55, -1
	v_mov_b32_e32 v15, s51
	v_add_co_u32_e64 v7, s[2:3], s50, v7
	s_cmp_eq_u64 s[54:55], 0
	v_addc_co_u32_e64 v8, s[2:3], v8, v15, s[2:3]
	s_cbranch_scc1 .LBB6_13
.LBB6_17:                               ;   Parent Loop BB6_3 Depth=1
                                        ;     Parent Loop BB6_14 Depth=2
                                        ; =>    This Inner Loop Header: Depth=3
	v_cmp_lt_i64_e64 s[2:3], -1, v[11:12]
	v_cmp_gt_i64_e64 s[4:5], s[14:15], v[11:12]
	s_and_b64 s[2:3], vcc, s[2:3]
	s_and_b64 s[2:3], s[0:1], s[2:3]
	s_and_b64 s[4:5], s[2:3], s[4:5]
	v_mov_b32_e32 v15, 0
	s_and_saveexec_b64 s[2:3], s[4:5]
	s_cbranch_execz .LBB6_16
; %bb.18:                               ;   in Loop: Header=BB6_17 Depth=3
	global_load_ushort v15, v[13:14], off
	s_branch .LBB6_16
.LBB6_19:
	s_endpgm
	.section	.rodata,"a",@progbits
	.p2align	6, 0x0
	.amdhsa_kernel _ZN2at6native13im2col_kernelIN3c104HalfEEEvlPKT_llllllllllllPS4_
		.amdhsa_group_segment_fixed_size 0
		.amdhsa_private_segment_fixed_size 0
		.amdhsa_kernarg_size 376
		.amdhsa_user_sgpr_count 6
		.amdhsa_user_sgpr_private_segment_buffer 1
		.amdhsa_user_sgpr_dispatch_ptr 0
		.amdhsa_user_sgpr_queue_ptr 0
		.amdhsa_user_sgpr_kernarg_segment_ptr 1
		.amdhsa_user_sgpr_dispatch_id 0
		.amdhsa_user_sgpr_flat_scratch_init 0
		.amdhsa_user_sgpr_private_segment_size 0
		.amdhsa_uses_dynamic_stack 0
		.amdhsa_system_sgpr_private_segment_wavefront_offset 0
		.amdhsa_system_sgpr_workgroup_id_x 1
		.amdhsa_system_sgpr_workgroup_id_y 0
		.amdhsa_system_sgpr_workgroup_id_z 0
		.amdhsa_system_sgpr_workgroup_info 0
		.amdhsa_system_vgpr_workitem_id 0
		.amdhsa_next_free_vgpr 20
		.amdhsa_next_free_sgpr 65
		.amdhsa_reserve_vcc 1
		.amdhsa_reserve_flat_scratch 0
		.amdhsa_float_round_mode_32 0
		.amdhsa_float_round_mode_16_64 0
		.amdhsa_float_denorm_mode_32 3
		.amdhsa_float_denorm_mode_16_64 3
		.amdhsa_dx10_clamp 1
		.amdhsa_ieee_mode 1
		.amdhsa_fp16_overflow 0
		.amdhsa_exception_fp_ieee_invalid_op 0
		.amdhsa_exception_fp_denorm_src 0
		.amdhsa_exception_fp_ieee_div_zero 0
		.amdhsa_exception_fp_ieee_overflow 0
		.amdhsa_exception_fp_ieee_underflow 0
		.amdhsa_exception_fp_ieee_inexact 0
		.amdhsa_exception_int_div_zero 0
	.end_amdhsa_kernel
	.section	.text._ZN2at6native13im2col_kernelIN3c104HalfEEEvlPKT_llllllllllllPS4_,"axG",@progbits,_ZN2at6native13im2col_kernelIN3c104HalfEEEvlPKT_llllllllllllPS4_,comdat
.Lfunc_end6:
	.size	_ZN2at6native13im2col_kernelIN3c104HalfEEEvlPKT_llllllllllllPS4_, .Lfunc_end6-_ZN2at6native13im2col_kernelIN3c104HalfEEEvlPKT_llllllllllllPS4_
                                        ; -- End function
	.set _ZN2at6native13im2col_kernelIN3c104HalfEEEvlPKT_llllllllllllPS4_.num_vgpr, 20
	.set _ZN2at6native13im2col_kernelIN3c104HalfEEEvlPKT_llllllllllllPS4_.num_agpr, 0
	.set _ZN2at6native13im2col_kernelIN3c104HalfEEEvlPKT_llllllllllllPS4_.numbered_sgpr, 65
	.set _ZN2at6native13im2col_kernelIN3c104HalfEEEvlPKT_llllllllllllPS4_.num_named_barrier, 0
	.set _ZN2at6native13im2col_kernelIN3c104HalfEEEvlPKT_llllllllllllPS4_.private_seg_size, 0
	.set _ZN2at6native13im2col_kernelIN3c104HalfEEEvlPKT_llllllllllllPS4_.uses_vcc, 1
	.set _ZN2at6native13im2col_kernelIN3c104HalfEEEvlPKT_llllllllllllPS4_.uses_flat_scratch, 0
	.set _ZN2at6native13im2col_kernelIN3c104HalfEEEvlPKT_llllllllllllPS4_.has_dyn_sized_stack, 0
	.set _ZN2at6native13im2col_kernelIN3c104HalfEEEvlPKT_llllllllllllPS4_.has_recursion, 0
	.set _ZN2at6native13im2col_kernelIN3c104HalfEEEvlPKT_llllllllllllPS4_.has_indirect_call, 0
	.section	.AMDGPU.csdata,"",@progbits
; Kernel info:
; codeLenInByte = 2428
; TotalNumSgprs: 69
; NumVgprs: 20
; ScratchSize: 0
; MemoryBound: 0
; FloatMode: 240
; IeeeMode: 1
; LDSByteSize: 0 bytes/workgroup (compile time only)
; SGPRBlocks: 8
; VGPRBlocks: 4
; NumSGPRsForWavesPerEU: 69
; NumVGPRsForWavesPerEU: 20
; Occupancy: 10
; WaveLimiterHint : 0
; COMPUTE_PGM_RSRC2:SCRATCH_EN: 0
; COMPUTE_PGM_RSRC2:USER_SGPR: 6
; COMPUTE_PGM_RSRC2:TRAP_HANDLER: 0
; COMPUTE_PGM_RSRC2:TGID_X_EN: 1
; COMPUTE_PGM_RSRC2:TGID_Y_EN: 0
; COMPUTE_PGM_RSRC2:TGID_Z_EN: 0
; COMPUTE_PGM_RSRC2:TIDIG_COMP_CNT: 0
	.section	.text._ZN2at6native13im2col_kernelIN3c108BFloat16EEEvlPKT_llllllllllllPS4_,"axG",@progbits,_ZN2at6native13im2col_kernelIN3c108BFloat16EEEvlPKT_llllllllllllPS4_,comdat
	.protected	_ZN2at6native13im2col_kernelIN3c108BFloat16EEEvlPKT_llllllllllllPS4_ ; -- Begin function _ZN2at6native13im2col_kernelIN3c108BFloat16EEEvlPKT_llllllllllllPS4_
	.globl	_ZN2at6native13im2col_kernelIN3c108BFloat16EEEvlPKT_llllllllllllPS4_
	.p2align	8
	.type	_ZN2at6native13im2col_kernelIN3c108BFloat16EEEvlPKT_llllllllllllPS4_,@function
_ZN2at6native13im2col_kernelIN3c108BFloat16EEEvlPKT_llllllllllllPS4_: ; @_ZN2at6native13im2col_kernelIN3c108BFloat16EEEvlPKT_llllllllllllPS4_
; %bb.0:
	s_load_dword s2, s[4:5], 0x84
	s_load_dwordx16 s[8:23], s[4:5], 0x0
	s_add_u32 s0, s4, 0x78
	v_mov_b32_e32 v2, 0
	s_addc_u32 s1, s5, 0
	s_waitcnt lgkmcnt(0)
	s_and_b32 s2, s2, 0xffff
	v_mov_b32_e32 v1, v2
	v_mov_b32_e32 v3, s6
	v_mad_u64_u32 v[0:1], s[6:7], s2, v3, v[0:1]
	v_cmp_gt_i64_e32 vcc, s[8:9], v[0:1]
	s_and_saveexec_b64 s[6:7], vcc
	s_cbranch_execz .LBB7_19
; %bb.1:
	s_load_dwordx8 s[24:31], s[4:5], 0x60
	s_load_dwordx8 s[36:43], s[4:5], 0x40
	s_waitcnt lgkmcnt(0)
	v_cmp_gt_i64_e64 s[30:31], s[16:17], 0
	s_load_dword s0, s[0:1], 0x0
	v_cmp_gt_i64_e64 s[34:35], s[18:19], 0
	s_mul_i32 s3, s18, s25
	s_mul_hi_u32 s4, s18, s24
	s_mul_i32 s5, s19, s24
	s_mul_i32 s6, s18, s24
	s_add_i32 s3, s4, s3
	s_add_i32 s3, s3, s5
	s_mul_i32 s1, s6, s17
	s_mul_hi_u32 s4, s6, s16
	s_add_i32 s1, s4, s1
	s_mul_i32 s3, s3, s16
	s_add_i32 s33, s1, s3
	s_waitcnt lgkmcnt(0)
	s_mul_i32 s57, s0, s2
	s_lshl_b64 s[0:1], s[22:23], 1
	s_sub_u32 s0, 0, s0
	s_subb_u32 s1, 0, s1
	s_add_u32 s58, s10, s0
	s_addc_u32 s59, s11, s1
	s_mul_i32 s0, s40, s15
	s_mul_hi_u32 s1, s40, s14
	s_add_i32 s0, s1, s0
	s_mul_i32 s1, s41, s14
	s_add_i32 s1, s0, s1
	s_mul_i32 s0, s40, s14
	s_lshl_b64 s[46:47], s[0:1], 1
	s_mul_i32 s0, s26, s25
	s_mul_hi_u32 s1, s26, s24
	s_add_i32 s0, s1, s0
	s_mul_i32 s1, s27, s24
	s_add_i32 s1, s0, s1
	s_mul_i32 s0, s26, s24
	s_mul_i32 s56, s6, s16
	s_mov_b64 s[6:7], 0
	s_lshl_b64 s[10:11], s[14:15], 1
	s_lshl_b64 s[44:45], s[38:39], 1
	;; [unrolled: 1-line block ×4, first 2 shown]
	s_branch .LBB7_3
.LBB7_2:                                ;   in Loop: Header=BB7_3 Depth=1
	v_add_co_u32_e32 v0, vcc, s57, v0
	v_addc_co_u32_e32 v1, vcc, 0, v1, vcc
	v_cmp_le_i64_e32 vcc, s[8:9], v[0:1]
	s_or_b64 s[6:7], vcc, s[6:7]
	s_andn2_b64 exec, exec, s[6:7]
	s_cbranch_execz .LBB7_19
.LBB7_3:                                ; =>This Loop Header: Depth=1
                                        ;     Child Loop BB7_14 Depth 2
                                        ;       Child Loop BB7_17 Depth 3
	v_or_b32_e32 v3, s27, v1
	v_cmp_ne_u64_e32 vcc, 0, v[2:3]
                                        ; implicit-def: $vgpr4_vgpr5
	s_and_saveexec_b64 s[0:1], vcc
	s_xor_b64 s[2:3], exec, s[0:1]
	s_cbranch_execz .LBB7_5
; %bb.4:                                ;   in Loop: Header=BB7_3 Depth=1
	s_ashr_i32 s4, s27, 31
	s_add_u32 s0, s26, s4
	s_mov_b32 s5, s4
	s_addc_u32 s1, s27, s4
	s_xor_b64 s[52:53], s[0:1], s[4:5]
	v_cvt_f32_u32_e32 v3, s52
	v_cvt_f32_u32_e32 v4, s53
	s_sub_u32 s5, 0, s52
	s_subb_u32 s54, 0, s53
	v_ashrrev_i32_e32 v7, 31, v1
	v_mac_f32_e32 v3, 0x4f800000, v4
	v_rcp_f32_e32 v3, v3
	v_mul_f32_e32 v3, 0x5f7ffffc, v3
	v_mul_f32_e32 v4, 0x2f800000, v3
	v_trunc_f32_e32 v4, v4
	v_mac_f32_e32 v3, 0xcf800000, v4
	v_cvt_u32_f32_e32 v4, v4
	v_cvt_u32_f32_e32 v3, v3
	v_readfirstlane_b32 s55, v4
	v_readfirstlane_b32 s0, v3
	s_mul_i32 s1, s5, s55
	s_mul_hi_u32 s61, s5, s0
	s_mul_i32 s60, s54, s0
	s_add_i32 s1, s61, s1
	s_add_i32 s1, s1, s60
	s_mul_i32 s62, s5, s0
	s_mul_i32 s61, s0, s1
	s_mul_hi_u32 s63, s0, s62
	s_mul_hi_u32 s60, s0, s1
	s_add_u32 s61, s63, s61
	s_addc_u32 s60, 0, s60
	s_mul_hi_u32 s64, s55, s62
	s_mul_i32 s62, s55, s62
	s_add_u32 s61, s61, s62
	s_mul_hi_u32 s63, s55, s1
	s_addc_u32 s60, s60, s64
	s_addc_u32 s61, s63, 0
	s_mul_i32 s1, s55, s1
	s_add_u32 s1, s60, s1
	s_addc_u32 s60, 0, s61
	s_add_u32 s61, s0, s1
	s_cselect_b64 s[0:1], -1, 0
	s_cmp_lg_u64 s[0:1], 0
	s_addc_u32 s55, s55, s60
	s_mul_i32 s0, s5, s55
	s_mul_hi_u32 s1, s5, s61
	s_add_i32 s0, s1, s0
	s_mul_i32 s54, s54, s61
	s_add_i32 s0, s0, s54
	s_mul_i32 s5, s5, s61
	s_mul_hi_u32 s54, s55, s5
	s_mul_i32 s60, s55, s5
	s_mul_i32 s63, s61, s0
	s_mul_hi_u32 s5, s61, s5
	s_mul_hi_u32 s62, s61, s0
	s_add_u32 s5, s5, s63
	s_addc_u32 s62, 0, s62
	s_add_u32 s5, s5, s60
	s_mul_hi_u32 s1, s55, s0
	s_addc_u32 s5, s62, s54
	s_addc_u32 s1, s1, 0
	s_mul_i32 s0, s55, s0
	s_add_u32 s0, s5, s0
	s_addc_u32 s5, 0, s1
	s_add_u32 s54, s61, s0
	s_cselect_b64 s[0:1], -1, 0
	s_cmp_lg_u64 s[0:1], 0
	v_add_co_u32_e32 v3, vcc, v0, v7
	s_addc_u32 s5, s55, s5
	v_xor_b32_e32 v8, v3, v7
	v_mad_u64_u32 v[3:4], s[0:1], v8, s5, 0
	v_mul_hi_u32 v6, v8, s54
	v_addc_co_u32_e32 v5, vcc, v1, v7, vcc
	v_xor_b32_e32 v9, v5, v7
	v_add_co_u32_e32 v10, vcc, v6, v3
	v_addc_co_u32_e32 v11, vcc, 0, v4, vcc
	v_mad_u64_u32 v[3:4], s[0:1], v9, s54, 0
	v_mad_u64_u32 v[5:6], s[0:1], v9, s5, 0
	v_add_co_u32_e32 v3, vcc, v10, v3
	v_addc_co_u32_e32 v3, vcc, v11, v4, vcc
	v_addc_co_u32_e32 v4, vcc, 0, v6, vcc
	v_add_co_u32_e32 v5, vcc, v3, v5
	v_addc_co_u32_e32 v6, vcc, 0, v4, vcc
	v_mul_lo_u32 v10, s53, v5
	v_mul_lo_u32 v11, s52, v6
	v_mad_u64_u32 v[3:4], s[0:1], s52, v5, 0
	v_add3_u32 v4, v4, v11, v10
	v_sub_u32_e32 v10, v9, v4
	v_mov_b32_e32 v11, s53
	v_sub_co_u32_e32 v3, vcc, v8, v3
	v_subb_co_u32_e64 v8, s[0:1], v10, v11, vcc
	v_subrev_co_u32_e64 v10, s[0:1], s52, v3
	v_subbrev_co_u32_e64 v8, s[0:1], 0, v8, s[0:1]
	v_cmp_le_u32_e64 s[0:1], s53, v8
	v_cndmask_b32_e64 v11, 0, -1, s[0:1]
	v_cmp_le_u32_e64 s[0:1], s52, v10
	v_cndmask_b32_e64 v10, 0, -1, s[0:1]
	v_cmp_eq_u32_e64 s[0:1], s53, v8
	v_cndmask_b32_e64 v8, v11, v10, s[0:1]
	v_add_co_u32_e64 v10, s[0:1], 2, v5
	v_subb_co_u32_e32 v4, vcc, v9, v4, vcc
	v_addc_co_u32_e64 v11, s[0:1], 0, v6, s[0:1]
	v_cmp_le_u32_e32 vcc, s53, v4
	v_add_co_u32_e64 v12, s[0:1], 1, v5
	v_cndmask_b32_e64 v9, 0, -1, vcc
	v_cmp_le_u32_e32 vcc, s52, v3
	v_addc_co_u32_e64 v13, s[0:1], 0, v6, s[0:1]
	v_cndmask_b32_e64 v3, 0, -1, vcc
	v_cmp_eq_u32_e32 vcc, s53, v4
	v_cmp_ne_u32_e64 s[0:1], 0, v8
	v_cndmask_b32_e32 v3, v9, v3, vcc
	v_cmp_ne_u32_e32 vcc, 0, v3
	v_cndmask_b32_e64 v4, v12, v10, s[0:1]
	v_cndmask_b32_e64 v8, v13, v11, s[0:1]
	v_cndmask_b32_e32 v4, v5, v4, vcc
	v_xor_b32_e32 v5, s4, v7
	v_cndmask_b32_e32 v3, v6, v8, vcc
	v_xor_b32_e32 v4, v4, v5
	v_xor_b32_e32 v3, v3, v5
	v_sub_co_u32_e32 v4, vcc, v4, v5
	v_subb_co_u32_e32 v5, vcc, v3, v5, vcc
.LBB7_5:                                ;   in Loop: Header=BB7_3 Depth=1
	s_andn2_saveexec_b64 s[0:1], s[2:3]
	s_cbranch_execz .LBB7_7
; %bb.6:                                ;   in Loop: Header=BB7_3 Depth=1
	v_cvt_f32_u32_e32 v3, s26
	s_sub_i32 s2, 0, s26
	v_rcp_iflag_f32_e32 v3, v3
	v_mul_f32_e32 v3, 0x4f7ffffe, v3
	v_cvt_u32_f32_e32 v3, v3
	v_mul_lo_u32 v4, s2, v3
	v_mul_hi_u32 v4, v3, v4
	v_add_u32_e32 v3, v3, v4
	v_mul_hi_u32 v3, v0, v3
	v_mul_lo_u32 v4, v3, s26
	v_add_u32_e32 v5, 1, v3
	v_sub_u32_e32 v4, v0, v4
	v_subrev_u32_e32 v6, s26, v4
	v_cmp_le_u32_e32 vcc, s26, v4
	v_cndmask_b32_e32 v4, v4, v6, vcc
	v_cndmask_b32_e32 v3, v3, v5, vcc
	v_add_u32_e32 v5, 1, v3
	v_cmp_le_u32_e32 vcc, s26, v4
	v_cndmask_b32_e32 v4, v3, v5, vcc
	v_mov_b32_e32 v5, v2
.LBB7_7:                                ;   in Loop: Header=BB7_3 Depth=1
	s_or_b64 exec, exec, s[0:1]
	v_or_b32_e32 v3, s25, v5
	v_cmp_ne_u64_e32 vcc, 0, v[2:3]
                                        ; implicit-def: $vgpr6_vgpr7
	s_and_saveexec_b64 s[0:1], vcc
	s_xor_b64 s[2:3], exec, s[0:1]
	s_cbranch_execnz .LBB7_10
; %bb.8:                                ;   in Loop: Header=BB7_3 Depth=1
	s_andn2_saveexec_b64 s[0:1], s[2:3]
	s_cbranch_execnz .LBB7_11
.LBB7_9:                                ;   in Loop: Header=BB7_3 Depth=1
	s_or_b64 exec, exec, s[0:1]
	s_andn2_b64 vcc, exec, s[30:31]
	s_cbranch_vccz .LBB7_12
	s_branch .LBB7_2
.LBB7_10:                               ;   in Loop: Header=BB7_3 Depth=1
	s_ashr_i32 s4, s25, 31
	s_add_u32 s0, s24, s4
	s_mov_b32 s5, s4
	s_addc_u32 s1, s25, s4
	s_xor_b64 s[52:53], s[0:1], s[4:5]
	v_cvt_f32_u32_e32 v3, s52
	v_cvt_f32_u32_e32 v6, s53
	s_sub_u32 s5, 0, s52
	s_subb_u32 s54, 0, s53
	v_mac_f32_e32 v3, 0x4f800000, v6
	v_rcp_f32_e32 v3, v3
	v_mul_f32_e32 v3, 0x5f7ffffc, v3
	v_mul_f32_e32 v6, 0x2f800000, v3
	v_trunc_f32_e32 v6, v6
	v_mac_f32_e32 v3, 0xcf800000, v6
	v_cvt_u32_f32_e32 v6, v6
	v_cvt_u32_f32_e32 v3, v3
	v_readfirstlane_b32 s55, v6
	v_readfirstlane_b32 s0, v3
	s_mul_i32 s1, s5, s55
	s_mul_hi_u32 s61, s5, s0
	s_mul_i32 s60, s54, s0
	s_add_i32 s1, s61, s1
	s_add_i32 s1, s1, s60
	s_mul_i32 s62, s5, s0
	s_mul_i32 s61, s0, s1
	s_mul_hi_u32 s63, s0, s62
	s_mul_hi_u32 s60, s0, s1
	s_add_u32 s61, s63, s61
	s_addc_u32 s60, 0, s60
	s_mul_hi_u32 s64, s55, s62
	s_mul_i32 s62, s55, s62
	s_add_u32 s61, s61, s62
	s_mul_hi_u32 s63, s55, s1
	s_addc_u32 s60, s60, s64
	s_addc_u32 s61, s63, 0
	s_mul_i32 s1, s55, s1
	s_add_u32 s1, s60, s1
	s_addc_u32 s60, 0, s61
	s_add_u32 s61, s0, s1
	s_cselect_b64 s[0:1], -1, 0
	s_cmp_lg_u64 s[0:1], 0
	s_addc_u32 s55, s55, s60
	s_mul_i32 s0, s5, s55
	s_mul_hi_u32 s1, s5, s61
	s_add_i32 s0, s1, s0
	s_mul_i32 s54, s54, s61
	s_add_i32 s0, s0, s54
	s_mul_i32 s5, s5, s61
	s_mul_hi_u32 s54, s55, s5
	s_mul_i32 s60, s55, s5
	s_mul_i32 s63, s61, s0
	s_mul_hi_u32 s5, s61, s5
	s_mul_hi_u32 s62, s61, s0
	s_add_u32 s5, s5, s63
	s_addc_u32 s62, 0, s62
	s_add_u32 s5, s5, s60
	s_mul_hi_u32 s1, s55, s0
	s_addc_u32 s5, s62, s54
	s_addc_u32 s1, s1, 0
	s_mul_i32 s0, s55, s0
	s_add_u32 s0, s5, s0
	s_addc_u32 s5, 0, s1
	s_add_u32 s54, s61, s0
	s_cselect_b64 s[0:1], -1, 0
	v_ashrrev_i32_e32 v3, 31, v5
	s_cmp_lg_u64 s[0:1], 0
	v_add_co_u32_e32 v6, vcc, v4, v3
	s_addc_u32 s5, s55, s5
	v_xor_b32_e32 v10, v6, v3
	v_mad_u64_u32 v[6:7], s[0:1], v10, s5, 0
	v_mul_hi_u32 v9, v10, s54
	v_addc_co_u32_e32 v8, vcc, v5, v3, vcc
	v_xor_b32_e32 v11, v8, v3
	v_add_co_u32_e32 v12, vcc, v9, v6
	v_addc_co_u32_e32 v13, vcc, 0, v7, vcc
	v_mad_u64_u32 v[6:7], s[0:1], v11, s54, 0
	v_mad_u64_u32 v[8:9], s[0:1], v11, s5, 0
	v_add_co_u32_e32 v6, vcc, v12, v6
	v_addc_co_u32_e32 v6, vcc, v13, v7, vcc
	v_addc_co_u32_e32 v7, vcc, 0, v9, vcc
	v_add_co_u32_e32 v8, vcc, v6, v8
	v_addc_co_u32_e32 v9, vcc, 0, v7, vcc
	v_mul_lo_u32 v12, s53, v8
	v_mul_lo_u32 v13, s52, v9
	v_mad_u64_u32 v[6:7], s[0:1], s52, v8, 0
	v_xor_b32_e32 v3, s4, v3
	v_add3_u32 v7, v7, v13, v12
	v_sub_u32_e32 v12, v11, v7
	v_mov_b32_e32 v13, s53
	v_sub_co_u32_e32 v6, vcc, v10, v6
	v_subb_co_u32_e64 v10, s[0:1], v12, v13, vcc
	v_subrev_co_u32_e64 v12, s[0:1], s52, v6
	v_subbrev_co_u32_e64 v10, s[0:1], 0, v10, s[0:1]
	v_cmp_le_u32_e64 s[0:1], s53, v10
	v_cndmask_b32_e64 v13, 0, -1, s[0:1]
	v_cmp_le_u32_e64 s[0:1], s52, v12
	v_cndmask_b32_e64 v12, 0, -1, s[0:1]
	v_cmp_eq_u32_e64 s[0:1], s53, v10
	v_cndmask_b32_e64 v10, v13, v12, s[0:1]
	v_add_co_u32_e64 v12, s[0:1], 2, v8
	v_subb_co_u32_e32 v7, vcc, v11, v7, vcc
	v_addc_co_u32_e64 v13, s[0:1], 0, v9, s[0:1]
	v_cmp_le_u32_e32 vcc, s53, v7
	v_add_co_u32_e64 v14, s[0:1], 1, v8
	v_cndmask_b32_e64 v11, 0, -1, vcc
	v_cmp_le_u32_e32 vcc, s52, v6
	v_addc_co_u32_e64 v15, s[0:1], 0, v9, s[0:1]
	v_cndmask_b32_e64 v6, 0, -1, vcc
	v_cmp_eq_u32_e32 vcc, s53, v7
	v_cmp_ne_u32_e64 s[0:1], 0, v10
	v_cndmask_b32_e32 v6, v11, v6, vcc
	v_cndmask_b32_e64 v10, v15, v13, s[0:1]
	v_cmp_ne_u32_e32 vcc, 0, v6
	v_cndmask_b32_e64 v7, v14, v12, s[0:1]
	v_cndmask_b32_e32 v6, v9, v10, vcc
	v_cndmask_b32_e32 v7, v8, v7, vcc
	v_xor_b32_e32 v8, v6, v3
	v_xor_b32_e32 v6, v7, v3
	v_sub_co_u32_e32 v6, vcc, v6, v3
	v_subb_co_u32_e32 v7, vcc, v8, v3, vcc
	s_andn2_saveexec_b64 s[0:1], s[2:3]
	s_cbranch_execz .LBB7_9
.LBB7_11:                               ;   in Loop: Header=BB7_3 Depth=1
	v_cvt_f32_u32_e32 v3, s24
	s_sub_i32 s2, 0, s24
	v_rcp_iflag_f32_e32 v3, v3
	v_mul_f32_e32 v3, 0x4f7ffffe, v3
	v_cvt_u32_f32_e32 v3, v3
	v_mul_lo_u32 v6, s2, v3
	v_mul_hi_u32 v6, v3, v6
	v_add_u32_e32 v3, v3, v6
	v_mul_hi_u32 v3, v4, v3
	v_mul_lo_u32 v6, v3, s24
	v_add_u32_e32 v7, 1, v3
	v_sub_u32_e32 v6, v4, v6
	v_subrev_u32_e32 v8, s24, v6
	v_cmp_le_u32_e32 vcc, s24, v6
	v_cndmask_b32_e32 v6, v6, v8, vcc
	v_cndmask_b32_e32 v3, v3, v7, vcc
	v_add_u32_e32 v7, 1, v3
	v_cmp_le_u32_e32 vcc, s24, v6
	v_cndmask_b32_e32 v6, v3, v7, vcc
	v_mov_b32_e32 v7, v2
	s_or_b64 exec, exec, s[0:1]
	s_andn2_b64 vcc, exec, s[30:31]
	s_cbranch_vccnz .LBB7_2
.LBB7_12:                               ;   in Loop: Header=BB7_3 Depth=1
	v_mul_lo_u32 v3, v5, s26
	v_mul_lo_u32 v12, v4, s27
	v_mad_u64_u32 v[8:9], s[0:1], v4, s26, 0
	v_mul_lo_u32 v13, v7, s24
	v_mul_lo_u32 v14, v6, s25
	v_mad_u64_u32 v[10:11], s[0:1], v6, s24, 0
	v_add3_u32 v12, v9, v12, v3
	v_mul_lo_u32 v19, v7, s12
	v_add3_u32 v3, v11, v14, v13
	v_sub_co_u32_e32 v9, vcc, v4, v10
	v_subb_co_u32_e32 v10, vcc, v5, v3, vcc
	v_mul_lo_u32 v5, v10, s36
	v_mul_lo_u32 v13, v9, s37
	v_mad_u64_u32 v[3:4], s[0:1], v9, s36, 0
	v_sub_co_u32_e32 v11, vcc, v0, v8
	v_subb_co_u32_e32 v12, vcc, v1, v12, vcc
	v_add3_u32 v4, v4, v13, v5
	v_mul_lo_u32 v8, v12, s38
	v_mul_lo_u32 v15, v11, s39
	v_mad_u64_u32 v[13:14], s[0:1], v11, s38, 0
	v_mov_b32_e32 v5, s21
	v_subrev_co_u32_e32 v3, vcc, s20, v3
	v_subb_co_u32_e32 v4, vcc, v4, v5, vcc
	v_add3_u32 v16, v14, v15, v8
	v_mad_u64_u32 v[8:9], s[0:1], s56, v6, v[9:10]
	v_mul_lo_u32 v5, s56, v7
	v_mul_lo_u32 v10, s33, v6
	v_mov_b32_e32 v17, s23
	v_mad_u64_u32 v[14:15], s[0:1], v6, s12, v[3:4]
	v_add3_u32 v5, v10, v9, v5
	v_mul_lo_u32 v9, v8, s27
	v_mul_lo_u32 v10, v5, s26
	v_mad_u64_u32 v[7:8], s[0:1], v8, s26, 0
	v_subrev_co_u32_e32 v5, vcc, s22, v13
	v_mul_lo_u32 v18, v6, s13
	v_subb_co_u32_e32 v6, vcc, v16, v17, vcc
	v_add3_u32 v8, v8, v9, v10
	v_mul_lo_u32 v16, s45, v11
	v_mul_lo_u32 v17, s44, v12
	v_mad_u64_u32 v[9:10], s[0:1], s44, v11, 0
	v_lshlrev_b64 v[7:8], 1, v[7:8]
	v_add3_u32 v13, v19, v15, v18
	v_mov_b32_e32 v15, s29
	v_add_co_u32_e32 v18, vcc, s28, v7
	v_add3_u32 v10, v10, v17, v16
	v_addc_co_u32_e32 v15, vcc, v15, v8, vcc
	v_lshlrev_b64 v[7:8], 1, v[11:12]
	v_mad_u64_u32 v[9:10], s[0:1], s10, v14, v[9:10]
	v_mul_lo_u32 v11, s11, v14
	v_mul_lo_u32 v12, s10, v13
	v_add_co_u32_e32 v7, vcc, v18, v7
	v_addc_co_u32_e32 v8, vcc, v15, v8, vcc
	v_add3_u32 v10, v11, v10, v12
	v_mov_b32_e32 v11, s59
	v_add_co_u32_e32 v9, vcc, s58, v9
	v_addc_co_u32_e32 v10, vcc, v11, v10, vcc
	s_mov_b64 s[52:53], 0
	s_branch .LBB7_14
.LBB7_13:                               ;   in Loop: Header=BB7_14 Depth=2
	s_add_u32 s52, s52, 1
	s_addc_u32 s53, s53, 0
	v_mov_b32_e32 v11, s47
	v_add_co_u32_e32 v9, vcc, s46, v9
	s_cmp_eq_u64 s[52:53], s[16:17]
	v_addc_co_u32_e32 v10, vcc, v10, v11, vcc
	s_cbranch_scc1 .LBB7_2
.LBB7_14:                               ;   Parent Loop BB7_3 Depth=1
                                        ; =>  This Loop Header: Depth=2
                                        ;       Child Loop BB7_17 Depth 3
	s_andn2_b64 vcc, exec, s[34:35]
	s_cbranch_vccnz .LBB7_13
; %bb.15:                               ;   in Loop: Header=BB7_14 Depth=2
	v_mov_b32_e32 v11, s40
	v_mad_u64_u32 v[11:12], s[0:1], s52, v11, v[3:4]
	s_mul_i32 s0, s53, s40
	s_mul_i32 s1, s52, s41
	s_add_i32 s1, s1, s0
	v_add_u32_e32 v12, s1, v12
	v_cmp_lt_i64_e32 vcc, -1, v[11:12]
	v_cmp_gt_i64_e64 s[0:1], s[12:13], v[11:12]
	v_mov_b32_e32 v12, v6
	v_mov_b32_e32 v14, v10
	;; [unrolled: 1-line block ×4, first 2 shown]
	s_mov_b64 s[54:55], s[18:19]
	s_branch .LBB7_17
.LBB7_16:                               ;   in Loop: Header=BB7_17 Depth=3
	s_or_b64 exec, exec, s[2:3]
	s_waitcnt vmcnt(0)
	global_store_short v[7:8], v15, off
	v_mov_b32_e32 v15, s49
	v_add_co_u32_e64 v13, s[2:3], s48, v13
	v_addc_co_u32_e64 v14, s[2:3], v14, v15, s[2:3]
	v_mov_b32_e32 v15, s43
	v_add_co_u32_e64 v11, s[2:3], s42, v11
	s_add_u32 s54, s54, -1
	v_addc_co_u32_e64 v12, s[2:3], v12, v15, s[2:3]
	s_addc_u32 s55, s55, -1
	v_mov_b32_e32 v15, s51
	v_add_co_u32_e64 v7, s[2:3], s50, v7
	s_cmp_eq_u64 s[54:55], 0
	v_addc_co_u32_e64 v8, s[2:3], v8, v15, s[2:3]
	s_cbranch_scc1 .LBB7_13
.LBB7_17:                               ;   Parent Loop BB7_3 Depth=1
                                        ;     Parent Loop BB7_14 Depth=2
                                        ; =>    This Inner Loop Header: Depth=3
	v_cmp_lt_i64_e64 s[2:3], -1, v[11:12]
	v_cmp_gt_i64_e64 s[4:5], s[14:15], v[11:12]
	s_and_b64 s[2:3], vcc, s[2:3]
	s_and_b64 s[2:3], s[0:1], s[2:3]
	s_and_b64 s[4:5], s[2:3], s[4:5]
	v_mov_b32_e32 v15, 0
	s_and_saveexec_b64 s[2:3], s[4:5]
	s_cbranch_execz .LBB7_16
; %bb.18:                               ;   in Loop: Header=BB7_17 Depth=3
	global_load_ushort v15, v[13:14], off
	s_branch .LBB7_16
.LBB7_19:
	s_endpgm
	.section	.rodata,"a",@progbits
	.p2align	6, 0x0
	.amdhsa_kernel _ZN2at6native13im2col_kernelIN3c108BFloat16EEEvlPKT_llllllllllllPS4_
		.amdhsa_group_segment_fixed_size 0
		.amdhsa_private_segment_fixed_size 0
		.amdhsa_kernarg_size 376
		.amdhsa_user_sgpr_count 6
		.amdhsa_user_sgpr_private_segment_buffer 1
		.amdhsa_user_sgpr_dispatch_ptr 0
		.amdhsa_user_sgpr_queue_ptr 0
		.amdhsa_user_sgpr_kernarg_segment_ptr 1
		.amdhsa_user_sgpr_dispatch_id 0
		.amdhsa_user_sgpr_flat_scratch_init 0
		.amdhsa_user_sgpr_private_segment_size 0
		.amdhsa_uses_dynamic_stack 0
		.amdhsa_system_sgpr_private_segment_wavefront_offset 0
		.amdhsa_system_sgpr_workgroup_id_x 1
		.amdhsa_system_sgpr_workgroup_id_y 0
		.amdhsa_system_sgpr_workgroup_id_z 0
		.amdhsa_system_sgpr_workgroup_info 0
		.amdhsa_system_vgpr_workitem_id 0
		.amdhsa_next_free_vgpr 20
		.amdhsa_next_free_sgpr 65
		.amdhsa_reserve_vcc 1
		.amdhsa_reserve_flat_scratch 0
		.amdhsa_float_round_mode_32 0
		.amdhsa_float_round_mode_16_64 0
		.amdhsa_float_denorm_mode_32 3
		.amdhsa_float_denorm_mode_16_64 3
		.amdhsa_dx10_clamp 1
		.amdhsa_ieee_mode 1
		.amdhsa_fp16_overflow 0
		.amdhsa_exception_fp_ieee_invalid_op 0
		.amdhsa_exception_fp_denorm_src 0
		.amdhsa_exception_fp_ieee_div_zero 0
		.amdhsa_exception_fp_ieee_overflow 0
		.amdhsa_exception_fp_ieee_underflow 0
		.amdhsa_exception_fp_ieee_inexact 0
		.amdhsa_exception_int_div_zero 0
	.end_amdhsa_kernel
	.section	.text._ZN2at6native13im2col_kernelIN3c108BFloat16EEEvlPKT_llllllllllllPS4_,"axG",@progbits,_ZN2at6native13im2col_kernelIN3c108BFloat16EEEvlPKT_llllllllllllPS4_,comdat
.Lfunc_end7:
	.size	_ZN2at6native13im2col_kernelIN3c108BFloat16EEEvlPKT_llllllllllllPS4_, .Lfunc_end7-_ZN2at6native13im2col_kernelIN3c108BFloat16EEEvlPKT_llllllllllllPS4_
                                        ; -- End function
	.set _ZN2at6native13im2col_kernelIN3c108BFloat16EEEvlPKT_llllllllllllPS4_.num_vgpr, 20
	.set _ZN2at6native13im2col_kernelIN3c108BFloat16EEEvlPKT_llllllllllllPS4_.num_agpr, 0
	.set _ZN2at6native13im2col_kernelIN3c108BFloat16EEEvlPKT_llllllllllllPS4_.numbered_sgpr, 65
	.set _ZN2at6native13im2col_kernelIN3c108BFloat16EEEvlPKT_llllllllllllPS4_.num_named_barrier, 0
	.set _ZN2at6native13im2col_kernelIN3c108BFloat16EEEvlPKT_llllllllllllPS4_.private_seg_size, 0
	.set _ZN2at6native13im2col_kernelIN3c108BFloat16EEEvlPKT_llllllllllllPS4_.uses_vcc, 1
	.set _ZN2at6native13im2col_kernelIN3c108BFloat16EEEvlPKT_llllllllllllPS4_.uses_flat_scratch, 0
	.set _ZN2at6native13im2col_kernelIN3c108BFloat16EEEvlPKT_llllllllllllPS4_.has_dyn_sized_stack, 0
	.set _ZN2at6native13im2col_kernelIN3c108BFloat16EEEvlPKT_llllllllllllPS4_.has_recursion, 0
	.set _ZN2at6native13im2col_kernelIN3c108BFloat16EEEvlPKT_llllllllllllPS4_.has_indirect_call, 0
	.section	.AMDGPU.csdata,"",@progbits
; Kernel info:
; codeLenInByte = 2428
; TotalNumSgprs: 69
; NumVgprs: 20
; ScratchSize: 0
; MemoryBound: 0
; FloatMode: 240
; IeeeMode: 1
; LDSByteSize: 0 bytes/workgroup (compile time only)
; SGPRBlocks: 8
; VGPRBlocks: 4
; NumSGPRsForWavesPerEU: 69
; NumVGPRsForWavesPerEU: 20
; Occupancy: 10
; WaveLimiterHint : 0
; COMPUTE_PGM_RSRC2:SCRATCH_EN: 0
; COMPUTE_PGM_RSRC2:USER_SGPR: 6
; COMPUTE_PGM_RSRC2:TRAP_HANDLER: 0
; COMPUTE_PGM_RSRC2:TGID_X_EN: 1
; COMPUTE_PGM_RSRC2:TGID_Y_EN: 0
; COMPUTE_PGM_RSRC2:TGID_Z_EN: 0
; COMPUTE_PGM_RSRC2:TIDIG_COMP_CNT: 0
	.section	.AMDGPU.gpr_maximums,"",@progbits
	.set amdgpu.max_num_vgpr, 0
	.set amdgpu.max_num_agpr, 0
	.set amdgpu.max_num_sgpr, 0
	.section	.AMDGPU.csdata,"",@progbits
	.type	__hip_cuid_7f4e460d8f4f060e,@object ; @__hip_cuid_7f4e460d8f4f060e
	.section	.bss,"aw",@nobits
	.globl	__hip_cuid_7f4e460d8f4f060e
__hip_cuid_7f4e460d8f4f060e:
	.byte	0                               ; 0x0
	.size	__hip_cuid_7f4e460d8f4f060e, 1

	.ident	"AMD clang version 22.0.0git (https://github.com/RadeonOpenCompute/llvm-project roc-7.2.4 26084 f58b06dce1f9c15707c5f808fd002e18c2accf7e)"
	.section	".note.GNU-stack","",@progbits
	.addrsig
	.addrsig_sym __hip_cuid_7f4e460d8f4f060e
	.amdgpu_metadata
---
amdhsa.kernels:
  - .args:
      - .offset:         0
        .size:           8
        .value_kind:     by_value
      - .address_space:  global
        .offset:         8
        .size:           8
        .value_kind:     global_buffer
      - .offset:         16
        .size:           8
        .value_kind:     by_value
      - .offset:         24
        .size:           8
        .value_kind:     by_value
      - .offset:         32
        .size:           8
        .value_kind:     by_value
      - .offset:         40
        .size:           8
        .value_kind:     by_value
      - .offset:         48
        .size:           8
        .value_kind:     by_value
      - .offset:         56
        .size:           8
        .value_kind:     by_value
      - .offset:         64
        .size:           8
        .value_kind:     by_value
      - .offset:         72
        .size:           8
        .value_kind:     by_value
      - .offset:         80
        .size:           8
        .value_kind:     by_value
      - .offset:         88
        .size:           8
        .value_kind:     by_value
      - .offset:         96
        .size:           8
        .value_kind:     by_value
      - .offset:         104
        .size:           8
        .value_kind:     by_value
      - .address_space:  global
        .offset:         112
        .size:           8
        .value_kind:     global_buffer
      - .offset:         120
        .size:           4
        .value_kind:     hidden_block_count_x
      - .offset:         124
        .size:           4
        .value_kind:     hidden_block_count_y
      - .offset:         128
        .size:           4
        .value_kind:     hidden_block_count_z
      - .offset:         132
        .size:           2
        .value_kind:     hidden_group_size_x
      - .offset:         134
        .size:           2
        .value_kind:     hidden_group_size_y
      - .offset:         136
        .size:           2
        .value_kind:     hidden_group_size_z
      - .offset:         138
        .size:           2
        .value_kind:     hidden_remainder_x
      - .offset:         140
        .size:           2
        .value_kind:     hidden_remainder_y
      - .offset:         142
        .size:           2
        .value_kind:     hidden_remainder_z
      - .offset:         160
        .size:           8
        .value_kind:     hidden_global_offset_x
      - .offset:         168
        .size:           8
        .value_kind:     hidden_global_offset_y
      - .offset:         176
        .size:           8
        .value_kind:     hidden_global_offset_z
      - .offset:         184
        .size:           2
        .value_kind:     hidden_grid_dims
    .group_segment_fixed_size: 0
    .kernarg_segment_align: 8
    .kernarg_segment_size: 376
    .language:       OpenCL C
    .language_version:
      - 2
      - 0
    .max_flat_workgroup_size: 512
    .name:           _ZN2at6native13col2im_kernelIddEEvlPKT_llllllllllllPS2_
    .private_segment_fixed_size: 0
    .sgpr_count:     79
    .sgpr_spill_count: 0
    .symbol:         _ZN2at6native13col2im_kernelIddEEvlPKT_llllllllllllPS2_.kd
    .uniform_work_group_size: 1
    .uses_dynamic_stack: false
    .vgpr_count:     42
    .vgpr_spill_count: 0
    .wavefront_size: 64
  - .args:
      - .offset:         0
        .size:           8
        .value_kind:     by_value
      - .address_space:  global
        .offset:         8
        .size:           8
        .value_kind:     global_buffer
      - .offset:         16
        .size:           8
        .value_kind:     by_value
      - .offset:         24
        .size:           8
        .value_kind:     by_value
      - .offset:         32
        .size:           8
        .value_kind:     by_value
      - .offset:         40
        .size:           8
        .value_kind:     by_value
      - .offset:         48
        .size:           8
        .value_kind:     by_value
      - .offset:         56
        .size:           8
        .value_kind:     by_value
      - .offset:         64
        .size:           8
        .value_kind:     by_value
      - .offset:         72
        .size:           8
        .value_kind:     by_value
      - .offset:         80
        .size:           8
        .value_kind:     by_value
      - .offset:         88
        .size:           8
        .value_kind:     by_value
      - .offset:         96
        .size:           8
        .value_kind:     by_value
      - .offset:         104
        .size:           8
        .value_kind:     by_value
      - .address_space:  global
        .offset:         112
        .size:           8
        .value_kind:     global_buffer
      - .offset:         120
        .size:           4
        .value_kind:     hidden_block_count_x
      - .offset:         124
        .size:           4
        .value_kind:     hidden_block_count_y
      - .offset:         128
        .size:           4
        .value_kind:     hidden_block_count_z
      - .offset:         132
        .size:           2
        .value_kind:     hidden_group_size_x
      - .offset:         134
        .size:           2
        .value_kind:     hidden_group_size_y
      - .offset:         136
        .size:           2
        .value_kind:     hidden_group_size_z
      - .offset:         138
        .size:           2
        .value_kind:     hidden_remainder_x
      - .offset:         140
        .size:           2
        .value_kind:     hidden_remainder_y
      - .offset:         142
        .size:           2
        .value_kind:     hidden_remainder_z
      - .offset:         160
        .size:           8
        .value_kind:     hidden_global_offset_x
      - .offset:         168
        .size:           8
        .value_kind:     hidden_global_offset_y
      - .offset:         176
        .size:           8
        .value_kind:     hidden_global_offset_z
      - .offset:         184
        .size:           2
        .value_kind:     hidden_grid_dims
    .group_segment_fixed_size: 0
    .kernarg_segment_align: 8
    .kernarg_segment_size: 376
    .language:       OpenCL C
    .language_version:
      - 2
      - 0
    .max_flat_workgroup_size: 512
    .name:           _ZN2at6native13col2im_kernelIffEEvlPKT_llllllllllllPS2_
    .private_segment_fixed_size: 0
    .sgpr_count:     79
    .sgpr_spill_count: 0
    .symbol:         _ZN2at6native13col2im_kernelIffEEvlPKT_llllllllllllPS2_.kd
    .uniform_work_group_size: 1
    .uses_dynamic_stack: false
    .vgpr_count:     41
    .vgpr_spill_count: 0
    .wavefront_size: 64
  - .args:
      - .offset:         0
        .size:           8
        .value_kind:     by_value
      - .address_space:  global
        .offset:         8
        .size:           8
        .value_kind:     global_buffer
      - .offset:         16
        .size:           8
        .value_kind:     by_value
      - .offset:         24
        .size:           8
        .value_kind:     by_value
      - .offset:         32
        .size:           8
        .value_kind:     by_value
      - .offset:         40
        .size:           8
        .value_kind:     by_value
      - .offset:         48
        .size:           8
        .value_kind:     by_value
      - .offset:         56
        .size:           8
        .value_kind:     by_value
      - .offset:         64
        .size:           8
        .value_kind:     by_value
      - .offset:         72
        .size:           8
        .value_kind:     by_value
      - .offset:         80
        .size:           8
        .value_kind:     by_value
      - .offset:         88
        .size:           8
        .value_kind:     by_value
      - .offset:         96
        .size:           8
        .value_kind:     by_value
      - .offset:         104
        .size:           8
        .value_kind:     by_value
      - .address_space:  global
        .offset:         112
        .size:           8
        .value_kind:     global_buffer
      - .offset:         120
        .size:           4
        .value_kind:     hidden_block_count_x
      - .offset:         124
        .size:           4
        .value_kind:     hidden_block_count_y
      - .offset:         128
        .size:           4
        .value_kind:     hidden_block_count_z
      - .offset:         132
        .size:           2
        .value_kind:     hidden_group_size_x
      - .offset:         134
        .size:           2
        .value_kind:     hidden_group_size_y
      - .offset:         136
        .size:           2
        .value_kind:     hidden_group_size_z
      - .offset:         138
        .size:           2
        .value_kind:     hidden_remainder_x
      - .offset:         140
        .size:           2
        .value_kind:     hidden_remainder_y
      - .offset:         142
        .size:           2
        .value_kind:     hidden_remainder_z
      - .offset:         160
        .size:           8
        .value_kind:     hidden_global_offset_x
      - .offset:         168
        .size:           8
        .value_kind:     hidden_global_offset_y
      - .offset:         176
        .size:           8
        .value_kind:     hidden_global_offset_z
      - .offset:         184
        .size:           2
        .value_kind:     hidden_grid_dims
    .group_segment_fixed_size: 0
    .kernarg_segment_align: 8
    .kernarg_segment_size: 376
    .language:       OpenCL C
    .language_version:
      - 2
      - 0
    .max_flat_workgroup_size: 512
    .name:           _ZN2at6native13col2im_kernelIN3c104HalfEfEEvlPKT_llllllllllllPS4_
    .private_segment_fixed_size: 0
    .sgpr_count:     79
    .sgpr_spill_count: 0
    .symbol:         _ZN2at6native13col2im_kernelIN3c104HalfEfEEvlPKT_llllllllllllPS4_.kd
    .uniform_work_group_size: 1
    .uses_dynamic_stack: false
    .vgpr_count:     41
    .vgpr_spill_count: 0
    .wavefront_size: 64
  - .args:
      - .offset:         0
        .size:           8
        .value_kind:     by_value
      - .address_space:  global
        .offset:         8
        .size:           8
        .value_kind:     global_buffer
      - .offset:         16
        .size:           8
        .value_kind:     by_value
      - .offset:         24
        .size:           8
        .value_kind:     by_value
      - .offset:         32
        .size:           8
        .value_kind:     by_value
      - .offset:         40
        .size:           8
        .value_kind:     by_value
      - .offset:         48
        .size:           8
        .value_kind:     by_value
      - .offset:         56
        .size:           8
        .value_kind:     by_value
      - .offset:         64
        .size:           8
        .value_kind:     by_value
      - .offset:         72
        .size:           8
        .value_kind:     by_value
      - .offset:         80
        .size:           8
        .value_kind:     by_value
      - .offset:         88
        .size:           8
        .value_kind:     by_value
      - .offset:         96
        .size:           8
        .value_kind:     by_value
      - .offset:         104
        .size:           8
        .value_kind:     by_value
      - .address_space:  global
        .offset:         112
        .size:           8
        .value_kind:     global_buffer
      - .offset:         120
        .size:           4
        .value_kind:     hidden_block_count_x
      - .offset:         124
        .size:           4
        .value_kind:     hidden_block_count_y
      - .offset:         128
        .size:           4
        .value_kind:     hidden_block_count_z
      - .offset:         132
        .size:           2
        .value_kind:     hidden_group_size_x
      - .offset:         134
        .size:           2
        .value_kind:     hidden_group_size_y
      - .offset:         136
        .size:           2
        .value_kind:     hidden_group_size_z
      - .offset:         138
        .size:           2
        .value_kind:     hidden_remainder_x
      - .offset:         140
        .size:           2
        .value_kind:     hidden_remainder_y
      - .offset:         142
        .size:           2
        .value_kind:     hidden_remainder_z
      - .offset:         160
        .size:           8
        .value_kind:     hidden_global_offset_x
      - .offset:         168
        .size:           8
        .value_kind:     hidden_global_offset_y
      - .offset:         176
        .size:           8
        .value_kind:     hidden_global_offset_z
      - .offset:         184
        .size:           2
        .value_kind:     hidden_grid_dims
    .group_segment_fixed_size: 0
    .kernarg_segment_align: 8
    .kernarg_segment_size: 376
    .language:       OpenCL C
    .language_version:
      - 2
      - 0
    .max_flat_workgroup_size: 512
    .name:           _ZN2at6native13col2im_kernelIN3c108BFloat16EfEEvlPKT_llllllllllllPS4_
    .private_segment_fixed_size: 0
    .sgpr_count:     80
    .sgpr_spill_count: 0
    .symbol:         _ZN2at6native13col2im_kernelIN3c108BFloat16EfEEvlPKT_llllllllllllPS4_.kd
    .uniform_work_group_size: 1
    .uses_dynamic_stack: false
    .vgpr_count:     42
    .vgpr_spill_count: 0
    .wavefront_size: 64
  - .args:
      - .offset:         0
        .size:           8
        .value_kind:     by_value
      - .address_space:  global
        .offset:         8
        .size:           8
        .value_kind:     global_buffer
      - .offset:         16
        .size:           8
        .value_kind:     by_value
      - .offset:         24
        .size:           8
        .value_kind:     by_value
      - .offset:         32
        .size:           8
        .value_kind:     by_value
      - .offset:         40
        .size:           8
        .value_kind:     by_value
      - .offset:         48
        .size:           8
        .value_kind:     by_value
      - .offset:         56
        .size:           8
        .value_kind:     by_value
      - .offset:         64
        .size:           8
        .value_kind:     by_value
      - .offset:         72
        .size:           8
        .value_kind:     by_value
      - .offset:         80
        .size:           8
        .value_kind:     by_value
      - .offset:         88
        .size:           8
        .value_kind:     by_value
      - .offset:         96
        .size:           8
        .value_kind:     by_value
      - .offset:         104
        .size:           8
        .value_kind:     by_value
      - .address_space:  global
        .offset:         112
        .size:           8
        .value_kind:     global_buffer
      - .offset:         120
        .size:           4
        .value_kind:     hidden_block_count_x
      - .offset:         124
        .size:           4
        .value_kind:     hidden_block_count_y
      - .offset:         128
        .size:           4
        .value_kind:     hidden_block_count_z
      - .offset:         132
        .size:           2
        .value_kind:     hidden_group_size_x
      - .offset:         134
        .size:           2
        .value_kind:     hidden_group_size_y
      - .offset:         136
        .size:           2
        .value_kind:     hidden_group_size_z
      - .offset:         138
        .size:           2
        .value_kind:     hidden_remainder_x
      - .offset:         140
        .size:           2
        .value_kind:     hidden_remainder_y
      - .offset:         142
        .size:           2
        .value_kind:     hidden_remainder_z
      - .offset:         160
        .size:           8
        .value_kind:     hidden_global_offset_x
      - .offset:         168
        .size:           8
        .value_kind:     hidden_global_offset_y
      - .offset:         176
        .size:           8
        .value_kind:     hidden_global_offset_z
      - .offset:         184
        .size:           2
        .value_kind:     hidden_grid_dims
    .group_segment_fixed_size: 0
    .kernarg_segment_align: 8
    .kernarg_segment_size: 376
    .language:       OpenCL C
    .language_version:
      - 2
      - 0
    .max_flat_workgroup_size: 1024
    .name:           _ZN2at6native13im2col_kernelIdEEvlPKT_llllllllllllPS2_
    .private_segment_fixed_size: 0
    .sgpr_count:     69
    .sgpr_spill_count: 0
    .symbol:         _ZN2at6native13im2col_kernelIdEEvlPKT_llllllllllllPS2_.kd
    .uniform_work_group_size: 1
    .uses_dynamic_stack: false
    .vgpr_count:     20
    .vgpr_spill_count: 0
    .wavefront_size: 64
  - .args:
      - .offset:         0
        .size:           8
        .value_kind:     by_value
      - .address_space:  global
        .offset:         8
        .size:           8
        .value_kind:     global_buffer
      - .offset:         16
        .size:           8
        .value_kind:     by_value
      - .offset:         24
        .size:           8
        .value_kind:     by_value
      - .offset:         32
        .size:           8
        .value_kind:     by_value
      - .offset:         40
        .size:           8
        .value_kind:     by_value
      - .offset:         48
        .size:           8
        .value_kind:     by_value
      - .offset:         56
        .size:           8
        .value_kind:     by_value
      - .offset:         64
        .size:           8
        .value_kind:     by_value
      - .offset:         72
        .size:           8
        .value_kind:     by_value
      - .offset:         80
        .size:           8
        .value_kind:     by_value
      - .offset:         88
        .size:           8
        .value_kind:     by_value
      - .offset:         96
        .size:           8
        .value_kind:     by_value
      - .offset:         104
        .size:           8
        .value_kind:     by_value
      - .address_space:  global
        .offset:         112
        .size:           8
        .value_kind:     global_buffer
      - .offset:         120
        .size:           4
        .value_kind:     hidden_block_count_x
      - .offset:         124
        .size:           4
        .value_kind:     hidden_block_count_y
      - .offset:         128
        .size:           4
        .value_kind:     hidden_block_count_z
      - .offset:         132
        .size:           2
        .value_kind:     hidden_group_size_x
      - .offset:         134
        .size:           2
        .value_kind:     hidden_group_size_y
      - .offset:         136
        .size:           2
        .value_kind:     hidden_group_size_z
      - .offset:         138
        .size:           2
        .value_kind:     hidden_remainder_x
      - .offset:         140
        .size:           2
        .value_kind:     hidden_remainder_y
      - .offset:         142
        .size:           2
        .value_kind:     hidden_remainder_z
      - .offset:         160
        .size:           8
        .value_kind:     hidden_global_offset_x
      - .offset:         168
        .size:           8
        .value_kind:     hidden_global_offset_y
      - .offset:         176
        .size:           8
        .value_kind:     hidden_global_offset_z
      - .offset:         184
        .size:           2
        .value_kind:     hidden_grid_dims
    .group_segment_fixed_size: 0
    .kernarg_segment_align: 8
    .kernarg_segment_size: 376
    .language:       OpenCL C
    .language_version:
      - 2
      - 0
    .max_flat_workgroup_size: 1024
    .name:           _ZN2at6native13im2col_kernelIfEEvlPKT_llllllllllllPS2_
    .private_segment_fixed_size: 0
    .sgpr_count:     69
    .sgpr_spill_count: 0
    .symbol:         _ZN2at6native13im2col_kernelIfEEvlPKT_llllllllllllPS2_.kd
    .uniform_work_group_size: 1
    .uses_dynamic_stack: false
    .vgpr_count:     20
    .vgpr_spill_count: 0
    .wavefront_size: 64
  - .args:
      - .offset:         0
        .size:           8
        .value_kind:     by_value
      - .address_space:  global
        .offset:         8
        .size:           8
        .value_kind:     global_buffer
      - .offset:         16
        .size:           8
        .value_kind:     by_value
      - .offset:         24
        .size:           8
        .value_kind:     by_value
      - .offset:         32
        .size:           8
        .value_kind:     by_value
      - .offset:         40
        .size:           8
        .value_kind:     by_value
      - .offset:         48
        .size:           8
        .value_kind:     by_value
      - .offset:         56
        .size:           8
        .value_kind:     by_value
      - .offset:         64
        .size:           8
        .value_kind:     by_value
      - .offset:         72
        .size:           8
        .value_kind:     by_value
      - .offset:         80
        .size:           8
        .value_kind:     by_value
      - .offset:         88
        .size:           8
        .value_kind:     by_value
      - .offset:         96
        .size:           8
        .value_kind:     by_value
      - .offset:         104
        .size:           8
        .value_kind:     by_value
      - .address_space:  global
        .offset:         112
        .size:           8
        .value_kind:     global_buffer
      - .offset:         120
        .size:           4
        .value_kind:     hidden_block_count_x
      - .offset:         124
        .size:           4
        .value_kind:     hidden_block_count_y
      - .offset:         128
        .size:           4
        .value_kind:     hidden_block_count_z
      - .offset:         132
        .size:           2
        .value_kind:     hidden_group_size_x
      - .offset:         134
        .size:           2
        .value_kind:     hidden_group_size_y
      - .offset:         136
        .size:           2
        .value_kind:     hidden_group_size_z
      - .offset:         138
        .size:           2
        .value_kind:     hidden_remainder_x
      - .offset:         140
        .size:           2
        .value_kind:     hidden_remainder_y
      - .offset:         142
        .size:           2
        .value_kind:     hidden_remainder_z
      - .offset:         160
        .size:           8
        .value_kind:     hidden_global_offset_x
      - .offset:         168
        .size:           8
        .value_kind:     hidden_global_offset_y
      - .offset:         176
        .size:           8
        .value_kind:     hidden_global_offset_z
      - .offset:         184
        .size:           2
        .value_kind:     hidden_grid_dims
    .group_segment_fixed_size: 0
    .kernarg_segment_align: 8
    .kernarg_segment_size: 376
    .language:       OpenCL C
    .language_version:
      - 2
      - 0
    .max_flat_workgroup_size: 1024
    .name:           _ZN2at6native13im2col_kernelIN3c104HalfEEEvlPKT_llllllllllllPS4_
    .private_segment_fixed_size: 0
    .sgpr_count:     69
    .sgpr_spill_count: 0
    .symbol:         _ZN2at6native13im2col_kernelIN3c104HalfEEEvlPKT_llllllllllllPS4_.kd
    .uniform_work_group_size: 1
    .uses_dynamic_stack: false
    .vgpr_count:     20
    .vgpr_spill_count: 0
    .wavefront_size: 64
  - .args:
      - .offset:         0
        .size:           8
        .value_kind:     by_value
      - .address_space:  global
        .offset:         8
        .size:           8
        .value_kind:     global_buffer
      - .offset:         16
        .size:           8
        .value_kind:     by_value
      - .offset:         24
        .size:           8
        .value_kind:     by_value
      - .offset:         32
        .size:           8
        .value_kind:     by_value
      - .offset:         40
        .size:           8
        .value_kind:     by_value
      - .offset:         48
        .size:           8
        .value_kind:     by_value
      - .offset:         56
        .size:           8
        .value_kind:     by_value
      - .offset:         64
        .size:           8
        .value_kind:     by_value
      - .offset:         72
        .size:           8
        .value_kind:     by_value
      - .offset:         80
        .size:           8
        .value_kind:     by_value
      - .offset:         88
        .size:           8
        .value_kind:     by_value
      - .offset:         96
        .size:           8
        .value_kind:     by_value
      - .offset:         104
        .size:           8
        .value_kind:     by_value
      - .address_space:  global
        .offset:         112
        .size:           8
        .value_kind:     global_buffer
      - .offset:         120
        .size:           4
        .value_kind:     hidden_block_count_x
      - .offset:         124
        .size:           4
        .value_kind:     hidden_block_count_y
      - .offset:         128
        .size:           4
        .value_kind:     hidden_block_count_z
      - .offset:         132
        .size:           2
        .value_kind:     hidden_group_size_x
      - .offset:         134
        .size:           2
        .value_kind:     hidden_group_size_y
      - .offset:         136
        .size:           2
        .value_kind:     hidden_group_size_z
      - .offset:         138
        .size:           2
        .value_kind:     hidden_remainder_x
      - .offset:         140
        .size:           2
        .value_kind:     hidden_remainder_y
      - .offset:         142
        .size:           2
        .value_kind:     hidden_remainder_z
      - .offset:         160
        .size:           8
        .value_kind:     hidden_global_offset_x
      - .offset:         168
        .size:           8
        .value_kind:     hidden_global_offset_y
      - .offset:         176
        .size:           8
        .value_kind:     hidden_global_offset_z
      - .offset:         184
        .size:           2
        .value_kind:     hidden_grid_dims
    .group_segment_fixed_size: 0
    .kernarg_segment_align: 8
    .kernarg_segment_size: 376
    .language:       OpenCL C
    .language_version:
      - 2
      - 0
    .max_flat_workgroup_size: 1024
    .name:           _ZN2at6native13im2col_kernelIN3c108BFloat16EEEvlPKT_llllllllllllPS4_
    .private_segment_fixed_size: 0
    .sgpr_count:     69
    .sgpr_spill_count: 0
    .symbol:         _ZN2at6native13im2col_kernelIN3c108BFloat16EEEvlPKT_llllllllllllPS4_.kd
    .uniform_work_group_size: 1
    .uses_dynamic_stack: false
    .vgpr_count:     20
    .vgpr_spill_count: 0
    .wavefront_size: 64
amdhsa.target:   amdgcn-amd-amdhsa--gfx906
amdhsa.version:
  - 1
  - 2
...

	.end_amdgpu_metadata
